;; amdgpu-corpus repo=ROCm/rocFFT kind=compiled arch=gfx1100 opt=O3
	.text
	.amdgcn_target "amdgcn-amd-amdhsa--gfx1100"
	.amdhsa_code_object_version 6
	.protected	bluestein_single_fwd_len150_dim1_dp_op_CI_CI ; -- Begin function bluestein_single_fwd_len150_dim1_dp_op_CI_CI
	.globl	bluestein_single_fwd_len150_dim1_dp_op_CI_CI
	.p2align	8
	.type	bluestein_single_fwd_len150_dim1_dp_op_CI_CI,@function
bluestein_single_fwd_len150_dim1_dp_op_CI_CI: ; @bluestein_single_fwd_len150_dim1_dp_op_CI_CI
; %bb.0:
	s_load_b128 s[16:19], s[0:1], 0x28
	v_mul_u32_u24_e32 v1, 0x3334, v0
	s_mov_b32 s2, exec_lo
	s_delay_alu instid0(VALU_DEP_1) | instskip(NEXT) | instid1(VALU_DEP_1)
	v_lshrrev_b32_e32 v1, 16, v1
	v_mad_u64_u32 v[2:3], null, s15, 12, v[1:2]
	v_mov_b32_e32 v3, 0
	s_waitcnt lgkmcnt(0)
	s_delay_alu instid0(VALU_DEP_1)
	v_cmpx_gt_u64_e64 s[16:17], v[2:3]
	s_cbranch_execz .LBB0_2
; %bb.1:
	s_clause 0x1
	s_load_b128 s[4:7], s[0:1], 0x18
	s_load_b128 s[8:11], s[0:1], 0x0
	v_mul_lo_u16 v1, v1, 5
	s_mov_b32 s16, 0x134454ff
	s_mov_b32 s17, 0x3fee6f0e
	;; [unrolled: 1-line block ×4, first 2 shown]
	v_sub_nc_u16 v68, v0, v1
	s_mov_b32 s29, 0xbfe9e377
	s_mov_b32 s28, s24
	v_mov_b32_e32 v66, v2
	s_mov_b32 s27, 0xbfd3c6ef
	v_and_b32_e32 v119, 0xffff, v68
	s_mov_b32 s22, 0xe8584caa
	s_mov_b32 s23, 0x3febb67a
	s_load_b64 s[0:1], s[0:1], 0x38
	s_delay_alu instid0(VALU_DEP_1)
	v_or_b32_e32 v10, 0x78, v119
	v_or_b32_e32 v11, 0x50, v119
	v_lshlrev_b32_e32 v67, 4, v119
	s_waitcnt lgkmcnt(0)
	s_load_b128 s[12:15], s[4:5], 0x0
	s_add_u32 s20, s8, 0x960
	s_addc_u32 s21, s9, 0
	v_or_b32_e32 v20, 40, v119
	s_clause 0x1
	global_load_b128 v[81:84], v67, s[8:9]
	global_load_b128 v[62:65], v67, s[8:9] offset:1920
	s_clause 0x2
	scratch_store_b32 off, v10, off offset:4
	scratch_store_b32 off, v11, off
	scratch_store_b32 off, v20, off offset:688
	s_waitcnt lgkmcnt(0)
	v_mad_u64_u32 v[0:1], null, s14, v2, 0
	v_mad_u64_u32 v[2:3], null, s12, v119, 0
	s_mul_i32 s2, s13, 0xf0
	s_mul_hi_u32 s4, s12, 0xf0
	s_mul_hi_u32 s5, s12, 0x1e0
	s_add_i32 s2, s4, s2
	s_mul_i32 s4, s13, 0x1e0
	v_mad_u64_u32 v[14:15], null, s12, v20, 0
	s_delay_alu instid0(VALU_DEP_2) | instskip(SKIP_4) | instid1(VALU_DEP_2)
	v_mad_u64_u32 v[4:5], null, s15, v66, v[1:2]
	s_add_i32 s5, s5, s4
	s_mul_i32 s4, s13, 0xfffff7e0
	s_mul_i32 s3, s12, 0xf0
	s_sub_i32 s4, s4, s12
	v_mad_u64_u32 v[16:17], null, s13, v20, v[15:16]
	s_delay_alu instid0(VALU_DEP_2) | instskip(SKIP_3) | instid1(VALU_DEP_4)
	v_mad_u64_u32 v[5:6], null, s13, v119, v[3:4]
	v_mov_b32_e32 v1, v4
	v_mad_u64_u32 v[6:7], null, s12, v11, 0
	s_mul_i32 s14, s12, 0x1e0
	v_mov_b32_e32 v15, v16
	s_delay_alu instid0(VALU_DEP_3) | instskip(SKIP_2) | instid1(VALU_DEP_4)
	v_lshlrev_b64 v[0:1], 4, v[0:1]
	v_mov_b32_e32 v3, v5
	v_mad_u64_u32 v[4:5], null, s12, v10, 0
	v_lshlrev_b64 v[14:15], 4, v[14:15]
	s_mov_b32 s15, 0xbfe2cf23
	s_delay_alu instid0(VALU_DEP_3) | instskip(SKIP_3) | instid1(VALU_DEP_3)
	v_lshlrev_b64 v[2:3], 4, v[2:3]
	v_add_co_u32 v18, vcc_lo, s18, v0
	v_add_co_ci_u32_e32 v19, vcc_lo, s19, v1, vcc_lo
	v_mad_u64_u32 v[8:9], null, s13, v10, v[5:6]
	v_add_co_u32 v12, vcc_lo, v18, v2
	s_delay_alu instid0(VALU_DEP_3) | instskip(SKIP_2) | instid1(VALU_DEP_3)
	v_add_co_ci_u32_e32 v13, vcc_lo, v19, v3, vcc_lo
	s_mov_b32 s19, 0xbfee6f0e
	s_mov_b32 s18, s16
	v_mad_u64_u32 v[9:10], null, s13, v11, v[7:8]
	global_load_b128 v[0:3], v[12:13], off
	v_mov_b32_e32 v5, v8
	v_mov_b32_e32 v7, v9
	s_delay_alu instid0(VALU_DEP_2) | instskip(NEXT) | instid1(VALU_DEP_2)
	v_lshlrev_b64 v[4:5], 4, v[4:5]
	v_lshlrev_b64 v[6:7], 4, v[6:7]
	s_delay_alu instid0(VALU_DEP_2) | instskip(NEXT) | instid1(VALU_DEP_3)
	v_add_co_u32 v4, vcc_lo, v18, v4
	v_add_co_ci_u32_e32 v5, vcc_lo, v19, v5, vcc_lo
	s_delay_alu instid0(VALU_DEP_3) | instskip(NEXT) | instid1(VALU_DEP_4)
	v_add_co_u32 v8, vcc_lo, v18, v6
	v_add_co_ci_u32_e32 v9, vcc_lo, v19, v7, vcc_lo
	global_load_b128 v[4:7], v[4:5], off
	global_load_b128 v[58:61], v67, s[8:9] offset:1280
	global_load_b128 v[8:11], v[8:9], off
	v_add_co_u32 v14, vcc_lo, v18, v14
	v_add_co_ci_u32_e32 v15, vcc_lo, v19, v15, vcc_lo
	v_add_co_u32 v20, vcc_lo, v12, s3
	v_add_co_ci_u32_e32 v21, vcc_lo, s2, v13, vcc_lo
	global_load_b128 v[54:57], v67, s[8:9] offset:640
	global_load_b128 v[12:15], v[14:15], off
	global_load_b128 v[85:88], v67, s[8:9] offset:240
	global_load_b128 v[16:19], v[20:21], off
	v_add_co_u32 v20, vcc_lo, v20, s3
	v_add_co_ci_u32_e32 v21, vcc_lo, s2, v21, vcc_lo
	global_load_b128 v[89:92], v67, s[8:9] offset:480
	v_add_co_u32 v28, vcc_lo, v20, s3
	v_add_co_ci_u32_e32 v29, vcc_lo, s2, v21, vcc_lo
	global_load_b128 v[20:23], v[20:21], off
	global_load_b128 v[93:96], v67, s[8:9] offset:720
	global_load_b128 v[24:27], v[28:29], off
	v_add_co_u32 v28, vcc_lo, v28, s3
	v_add_co_ci_u32_e32 v29, vcc_lo, s2, v29, vcc_lo
	global_load_b128 v[97:100], v67, s[8:9] offset:960
	v_add_co_u32 v36, vcc_lo, v28, s3
	v_add_co_ci_u32_e32 v37, vcc_lo, s2, v29, vcc_lo
	;; [unrolled: 8-line block ×3, first 2 shown]
	global_load_b128 v[36:39], v[36:37], off
	global_load_b128 v[73:76], v67, s[8:9] offset:1680
	global_load_b128 v[40:43], v[44:45], off
	s_waitcnt vmcnt(21)
	scratch_store_b128 off, v[81:84], off offset:480 ; 16-byte Folded Spill
	s_waitcnt vmcnt(20)
	scratch_store_b128 off, v[62:65], off offset:152 ; 16-byte Folded Spill
	s_waitcnt vmcnt(19)
	v_mul_f64 v[46:47], v[2:3], v[83:84]
	v_mul_f64 v[48:49], v[0:1], v[83:84]
	s_waitcnt vmcnt(18)
	v_mul_f64 v[50:51], v[6:7], v[64:65]
	v_mul_f64 v[52:53], v[4:5], v[64:65]
	s_waitcnt vmcnt(17)
	scratch_store_b128 off, v[58:61], off offset:136 ; 16-byte Folded Spill
	s_waitcnt vmcnt(15)
	scratch_store_b128 off, v[54:57], off offset:8 ; 16-byte Folded Spill
	;; [unrolled: 2-line block ×3, first 2 shown]
	v_fma_f64 v[0:1], v[0:1], v[81:82], v[46:47]
	v_fma_f64 v[2:3], v[2:3], v[81:82], -v[48:49]
	v_mul_f64 v[46:47], v[10:11], v[60:61]
	v_mul_f64 v[48:49], v[8:9], v[60:61]
	s_waitcnt vmcnt(11)
	scratch_store_b128 off, v[89:92], off offset:416 ; 16-byte Folded Spill
	s_waitcnt vmcnt(9)
	scratch_store_b128 off, v[93:96], off offset:432 ; 16-byte Folded Spill
	;; [unrolled: 2-line block ×4, first 2 shown]
	v_fma_f64 v[4:5], v[4:5], v[62:63], v[50:51]
	v_fma_f64 v[6:7], v[6:7], v[62:63], -v[52:53]
	v_mul_f64 v[50:51], v[14:15], v[56:57]
	v_mul_f64 v[52:53], v[12:13], v[56:57]
	s_waitcnt vmcnt(3)
	scratch_store_b128 off, v[77:80], off offset:384 ; 16-byte Folded Spill
	v_fma_f64 v[8:9], v[8:9], v[58:59], v[46:47]
	v_fma_f64 v[10:11], v[10:11], v[58:59], -v[48:49]
	global_load_b128 v[56:59], v67, s[8:9] offset:2160
	v_mul_f64 v[46:47], v[18:19], v[87:88]
	v_mul_f64 v[48:49], v[16:17], v[87:88]
	s_waitcnt vmcnt(0)
	s_clause 0x1
	scratch_store_b128 off, v[56:59], off offset:320
	scratch_store_b128 off, v[73:76], off offset:368
	v_fma_f64 v[16:17], v[16:17], v[85:86], v[46:47]
	v_mul_f64 v[46:47], v[26:27], v[95:96]
	v_fma_f64 v[18:19], v[18:19], v[85:86], -v[48:49]
	v_mul_f64 v[48:49], v[24:25], v[95:96]
	v_fma_f64 v[12:13], v[12:13], v[54:55], v[50:51]
	v_fma_f64 v[14:15], v[14:15], v[54:55], -v[52:53]
	v_add_co_u32 v54, vcc_lo, v44, s14
	v_add_co_ci_u32_e32 v55, vcc_lo, s5, v45, vcc_lo
	v_mul_f64 v[50:51], v[22:23], v[91:92]
	v_mul_f64 v[52:53], v[20:21], v[91:92]
	global_load_b128 v[62:65], v67, s[8:9] offset:320
	v_fma_f64 v[24:25], v[24:25], v[93:94], v[46:47]
	v_mul_f64 v[46:47], v[34:35], v[71:72]
	v_fma_f64 v[26:27], v[26:27], v[93:94], -v[48:49]
	v_mul_f64 v[48:49], v[32:33], v[71:72]
	v_fma_f64 v[20:21], v[20:21], v[89:90], v[50:51]
	v_mul_f64 v[50:51], v[30:31], v[99:100]
	v_fma_f64 v[22:23], v[22:23], v[89:90], -v[52:53]
	v_mul_f64 v[52:53], v[28:29], v[99:100]
	v_fma_f64 v[32:33], v[32:33], v[69:70], v[46:47]
	v_mul_f64 v[46:47], v[42:43], v[75:76]
	v_fma_f64 v[34:35], v[34:35], v[69:70], -v[48:49]
	global_load_b128 v[69:72], v67, s[8:9] offset:560
	v_mul_f64 v[48:49], v[40:41], v[75:76]
	v_fma_f64 v[28:29], v[28:29], v[97:98], v[50:51]
	v_mul_f64 v[50:51], v[38:39], v[79:80]
	v_fma_f64 v[30:31], v[30:31], v[97:98], -v[52:53]
	v_mul_f64 v[52:53], v[36:37], v[79:80]
	v_fma_f64 v[40:41], v[40:41], v[73:74], v[46:47]
	global_load_b128 v[44:47], v[54:55], off
	v_fma_f64 v[42:43], v[42:43], v[73:74], -v[48:49]
	global_load_b128 v[73:76], v67, s[8:9] offset:800
	v_fma_f64 v[36:37], v[36:37], v[77:78], v[50:51]
	v_fma_f64 v[38:39], v[38:39], v[77:78], -v[52:53]
	v_mad_u64_u32 v[52:53], null, 0xfffff7e0, s12, v[54:55]
	global_load_b128 v[77:80], v67, s[8:9] offset:1040
	v_add_nc_u32_e32 v53, s4, v53
	s_waitcnt vmcnt(4)
	scratch_store_b128 off, v[62:65], off offset:336 ; 16-byte Folded Spill
	s_waitcnt vmcnt(3)
	scratch_store_b128 off, v[69:72], off offset:256 ; 16-byte Folded Spill
	s_waitcnt vmcnt(2)
	v_mul_f64 v[48:49], v[46:47], v[58:59]
	v_mul_f64 v[50:51], v[44:45], v[58:59]
	global_load_b128 v[58:61], v67, s[8:9] offset:80
	s_waitcnt vmcnt(2)
	scratch_store_b128 off, v[73:76], off offset:288 ; 16-byte Folded Spill
	s_waitcnt vmcnt(1)
	scratch_store_b128 off, v[77:80], off offset:304 ; 16-byte Folded Spill
	v_fma_f64 v[44:45], v[44:45], v[56:57], v[48:49]
	v_fma_f64 v[46:47], v[46:47], v[56:57], -v[50:51]
	global_load_b128 v[48:51], v[52:53], off
	s_waitcnt vmcnt(1)
	scratch_store_b128 off, v[58:61], off offset:352 ; 16-byte Folded Spill
	s_waitcnt vmcnt(0)
	v_mul_f64 v[56:57], v[48:49], v[60:61]
	v_mul_f64 v[54:55], v[50:51], v[60:61]
	s_delay_alu instid0(VALU_DEP_2) | instskip(SKIP_2) | instid1(VALU_DEP_4)
	v_fma_f64 v[50:51], v[50:51], v[58:59], -v[56:57]
	v_add_co_u32 v56, vcc_lo, v52, s3
	v_add_co_ci_u32_e32 v57, vcc_lo, s2, v53, vcc_lo
	v_fma_f64 v[48:49], v[48:49], v[58:59], v[54:55]
	global_load_b128 v[52:55], v[56:57], off
	s_waitcnt vmcnt(0)
	v_mul_f64 v[60:61], v[52:53], v[64:65]
	v_mul_f64 v[58:59], v[54:55], v[64:65]
	s_delay_alu instid0(VALU_DEP_2) | instskip(SKIP_2) | instid1(VALU_DEP_4)
	v_fma_f64 v[54:55], v[54:55], v[62:63], -v[60:61]
	v_add_co_u32 v60, vcc_lo, v56, s3
	v_add_co_ci_u32_e32 v61, vcc_lo, s2, v57, vcc_lo
	v_fma_f64 v[52:53], v[52:53], v[62:63], v[58:59]
	global_load_b128 v[56:59], v[60:61], off
	;; [unrolled: 9-line block ×3, first 2 shown]
	v_add_co_u32 v64, vcc_lo, v64, s3
	v_add_co_ci_u32_e32 v65, vcc_lo, s2, v65, vcc_lo
	s_waitcnt vmcnt(0)
	v_mul_f64 v[69:70], v[62:63], v[75:76]
	v_mul_f64 v[71:72], v[60:61], v[75:76]
	s_delay_alu instid0(VALU_DEP_2) | instskip(NEXT) | instid1(VALU_DEP_2)
	v_fma_f64 v[60:61], v[60:61], v[73:74], v[69:70]
	v_fma_f64 v[62:63], v[62:63], v[73:74], -v[71:72]
	global_load_b128 v[73:76], v[64:65], off
	v_add_co_u32 v64, vcc_lo, v64, s14
	v_add_co_ci_u32_e32 v65, vcc_lo, s5, v65, vcc_lo
	s_waitcnt vmcnt(0)
	v_mul_f64 v[69:70], v[75:76], v[79:80]
	v_mul_f64 v[71:72], v[73:74], v[79:80]
	s_delay_alu instid0(VALU_DEP_2) | instskip(NEXT) | instid1(VALU_DEP_2)
	v_fma_f64 v[120:121], v[73:74], v[77:78], v[69:70]
	v_fma_f64 v[122:123], v[75:76], v[77:78], -v[71:72]
	global_load_b128 v[77:80], v67, s[8:9] offset:1520
	global_load_b128 v[73:76], v[64:65], off
	v_add_co_u32 v64, vcc_lo, v64, s3
	v_add_co_ci_u32_e32 v65, vcc_lo, s2, v65, vcc_lo
	s_waitcnt vmcnt(1)
	scratch_store_b128 off, v[77:80], off offset:216 ; 16-byte Folded Spill
	s_waitcnt vmcnt(0)
	v_mul_f64 v[69:70], v[75:76], v[79:80]
	v_mul_f64 v[71:72], v[73:74], v[79:80]
	s_delay_alu instid0(VALU_DEP_2) | instskip(NEXT) | instid1(VALU_DEP_2)
	v_fma_f64 v[124:125], v[73:74], v[77:78], v[69:70]
	v_fma_f64 v[126:127], v[75:76], v[77:78], -v[71:72]
	global_load_b128 v[77:80], v67, s[8:9] offset:1760
	global_load_b128 v[73:76], v[64:65], off
	v_add_co_u32 v64, vcc_lo, v64, s3
	v_add_co_ci_u32_e32 v65, vcc_lo, s2, v65, vcc_lo
	s_waitcnt vmcnt(0)
	v_mul_f64 v[69:70], v[75:76], v[79:80]
	v_mul_f64 v[71:72], v[73:74], v[79:80]
	s_delay_alu instid0(VALU_DEP_2) | instskip(NEXT) | instid1(VALU_DEP_2)
	v_fma_f64 v[128:129], v[73:74], v[77:78], v[69:70]
	v_fma_f64 v[130:131], v[75:76], v[77:78], -v[71:72]
	global_load_b128 v[73:76], v67, s[8:9] offset:2000
	scratch_store_b128 off, v[77:80], off offset:272 ; 16-byte Folded Spill
	global_load_b128 v[80:83], v[64:65], off
	v_add_co_u32 v64, vcc_lo, v64, s3
	v_add_co_ci_u32_e32 v65, vcc_lo, s2, v65, vcc_lo
	global_load_b128 v[84:87], v[64:65], off
	s_waitcnt vmcnt(2)
	scratch_store_b128 off, v[73:76], off offset:232 ; 16-byte Folded Spill
	s_waitcnt vmcnt(1)
	v_mul_f64 v[69:70], v[82:83], v[75:76]
	v_mul_f64 v[71:72], v[80:81], v[75:76]
	s_delay_alu instid0(VALU_DEP_2) | instskip(NEXT) | instid1(VALU_DEP_2)
	v_fma_f64 v[132:133], v[80:81], v[73:74], v[69:70]
	v_fma_f64 v[134:135], v[82:83], v[73:74], -v[71:72]
	global_load_b128 v[73:76], v67, s[8:9] offset:2240
	s_waitcnt vmcnt(0)
	v_mul_f64 v[69:70], v[86:87], v[75:76]
	v_mul_f64 v[71:72], v[84:85], v[75:76]
	scratch_store_b128 off, v[73:76], off offset:184 ; 16-byte Folded Spill
	v_fma_f64 v[136:137], v[84:85], v[73:74], v[69:70]
	v_mad_u64_u32 v[69:70], null, 0xfffff7e0, s12, v[64:65]
	v_fma_f64 v[138:139], v[86:87], v[73:74], -v[71:72]
	global_load_b128 v[73:76], v67, s[8:9] offset:160
	s_mov_b32 s12, 0x4755a5e
	s_mov_b32 s13, 0x3fe2cf23
	v_add_nc_u32_e32 v70, s4, v70
	global_load_b128 v[88:91], v[69:70], off
	s_waitcnt vmcnt(1)
	scratch_store_b128 off, v[73:76], off offset:168 ; 16-byte Folded Spill
	s_waitcnt vmcnt(0)
	v_mul_f64 v[64:65], v[90:91], v[75:76]
	v_mul_f64 v[71:72], v[88:89], v[75:76]
	s_delay_alu instid0(VALU_DEP_2) | instskip(SKIP_2) | instid1(VALU_DEP_4)
	v_fma_f64 v[140:141], v[88:89], v[73:74], v[64:65]
	v_add_co_u32 v64, vcc_lo, v69, s3
	v_add_co_ci_u32_e32 v65, vcc_lo, s2, v70, vcc_lo
	v_fma_f64 v[142:143], v[90:91], v[73:74], -v[71:72]
	global_load_b128 v[73:76], v67, s[8:9] offset:400
	global_load_b128 v[144:147], v[64:65], off
	v_add_co_u32 v64, vcc_lo, v64, s14
	v_add_co_ci_u32_e32 v65, vcc_lo, s5, v65, vcc_lo
	s_mov_b32 s14, s12
	global_load_b128 v[148:151], v[64:65], off
	v_add_co_u32 v64, vcc_lo, v64, s3
	v_add_co_ci_u32_e32 v65, vcc_lo, s2, v65, vcc_lo
	global_load_b128 v[152:155], v[64:65], off
	v_add_co_u32 v64, vcc_lo, v64, s3
	v_add_co_ci_u32_e32 v65, vcc_lo, s2, v65, vcc_lo
	;; [unrolled: 3-line block ×6, first 2 shown]
	s_mov_b32 s2, 0x372fe950
	s_mov_b32 s3, 0x3fd3c6ef
	;; [unrolled: 1-line block ×3, first 2 shown]
	s_waitcnt vmcnt(7)
	scratch_store_b128 off, v[73:76], off offset:200 ; 16-byte Folded Spill
	s_waitcnt vmcnt(6)
	v_mul_f64 v[69:70], v[146:147], v[75:76]
	v_mul_f64 v[71:72], v[144:145], v[75:76]
	s_delay_alu instid0(VALU_DEP_2) | instskip(NEXT) | instid1(VALU_DEP_2)
	v_fma_f64 v[144:145], v[144:145], v[73:74], v[69:70]
	v_fma_f64 v[146:147], v[146:147], v[73:74], -v[71:72]
	global_load_b128 v[73:76], v67, s[8:9] offset:880
	s_waitcnt vmcnt(0)
	v_mul_f64 v[69:70], v[150:151], v[75:76]
	v_mul_f64 v[71:72], v[148:149], v[75:76]
	scratch_store_b128 off, v[73:76], off offset:120 ; 16-byte Folded Spill
	v_fma_f64 v[148:149], v[148:149], v[73:74], v[69:70]
	v_fma_f64 v[150:151], v[150:151], v[73:74], -v[71:72]
	global_load_b128 v[73:76], v67, s[8:9] offset:1120
	s_waitcnt vmcnt(0)
	v_mul_f64 v[69:70], v[154:155], v[75:76]
	v_mul_f64 v[71:72], v[152:153], v[75:76]
	scratch_store_b128 off, v[73:76], off offset:72 ; 16-byte Folded Spill
	;; [unrolled: 7-line block ×6, first 2 shown]
	v_fma_f64 v[168:169], v[168:169], v[73:74], v[69:70]
	v_fma_f64 v[170:171], v[170:171], v[73:74], -v[71:72]
	global_load_b128 v[172:175], v[64:65], off
	global_load_b128 v[71:74], v67, s[8:9] offset:2320
	scratch_store_b64 off, v[66:67], off offset:248 ; 8-byte Folded Spill
	s_waitcnt vmcnt(0)
	v_mul_f64 v[64:65], v[174:175], v[73:74]
	v_mul_f64 v[69:70], v[172:173], v[73:74]
	scratch_store_b128 off, v[71:74], off offset:104 ; 16-byte Folded Spill
	v_fma_f64 v[172:173], v[172:173], v[71:72], v[64:65]
	v_mul_hi_u32 v64, 0xaaaaaaab, v66
	v_fma_f64 v[174:175], v[174:175], v[71:72], -v[69:70]
	s_delay_alu instid0(VALU_DEP_2) | instskip(NEXT) | instid1(VALU_DEP_1)
	v_lshrrev_b32_e32 v64, 3, v64
	v_mul_lo_u32 v64, v64, 12
	s_delay_alu instid0(VALU_DEP_1) | instskip(NEXT) | instid1(VALU_DEP_1)
	v_sub_nc_u32_e32 v64, v66, v64
	v_mul_u32_u24_e32 v64, 0x96, v64
	s_delay_alu instid0(VALU_DEP_1)
	v_lshlrev_b32_e32 v64, 4, v64
	scratch_store_b32 off, v64, off offset:560 ; 4-byte Folded Spill
	v_add_nc_u32_e32 v64, v67, v64
	ds_store_b128 v64, v[12:15] offset:640
	ds_store_b128 v64, v[0:3]
	ds_store_b128 v64, v[4:7] offset:1920
	ds_store_b128 v64, v[8:11] offset:1280
	;; [unrolled: 1-line block ×28, first 2 shown]
	s_load_b128 s[4:7], s[6:7], 0x0
	s_waitcnt lgkmcnt(0)
	s_waitcnt_vscnt null, 0x0
	s_barrier
	buffer_gl0_inv
	ds_load_b128 v[4:7], v64 offset:480
	ds_load_b128 v[0:3], v64
	ds_load_b128 v[14:17], v64 offset:960
	ds_load_b128 v[20:23], v64 offset:1440
	;; [unrolled: 1-line block ×3, first 2 shown]
	s_waitcnt lgkmcnt(3)
	v_add_f64 v[8:9], v[0:1], v[4:5]
	s_waitcnt lgkmcnt(2)
	v_add_f64 v[10:11], v[4:5], -v[14:15]
	v_add_f64 v[18:19], v[6:7], -v[16:17]
	s_waitcnt lgkmcnt(0)
	v_add_f64 v[24:25], v[4:5], v[28:29]
	v_add_f64 v[73:74], v[28:29], -v[20:21]
	v_add_f64 v[12:13], v[16:17], -v[22:23]
	v_add_f64 v[26:27], v[6:7], v[30:31]
	v_add_f64 v[44:45], v[30:31], -v[22:23]
	v_add_f64 v[32:33], v[8:9], v[14:15]
	v_add_f64 v[8:9], v[2:3], v[6:7]
	s_clause 0x1
	scratch_store_b64 off, v[10:11], off offset:576
	scratch_store_b64 off, v[18:19], off offset:592
	v_add_f64 v[10:11], v[14:15], -v[4:5]
	v_add_f64 v[18:19], v[4:5], -v[28:29]
	v_fma_f64 v[24:25], v[24:25], -0.5, v[0:1]
	v_fma_f64 v[26:27], v[26:27], -0.5, v[2:3]
	v_add_f64 v[4:5], v[32:33], v[20:21]
	v_add_f64 v[34:35], v[8:9], v[16:17]
	;; [unrolled: 1-line block ×3, first 2 shown]
	v_add_f64 v[14:15], v[14:15], -v[20:21]
	v_add_f64 v[20:21], v[20:21], -v[28:29]
	scratch_store_b64 off, v[10:11], off offset:496 ; 8-byte Folded Spill
	v_add_f64 v[10:11], v[16:17], v[22:23]
	v_add_f64 v[16:17], v[16:17], -v[6:7]
	v_add_f64 v[120:121], v[4:5], v[28:29]
	v_fma_f64 v[250:251], v[8:9], -0.5, v[0:1]
	scratch_store_b64 off, v[20:21], off offset:528 ; 8-byte Folded Spill
	v_add_f64 v[20:21], v[22:23], -v[30:31]
	v_fma_f64 v[252:253], v[10:11], -0.5, v[2:3]
	scratch_store_b64 off, v[16:17], off offset:512 ; 8-byte Folded Spill
	v_add_f64 v[16:17], v[6:7], -v[30:31]
	v_add_f64 v[6:7], v[34:35], v[22:23]
	scratch_store_b64 off, v[20:21], off offset:544 ; 8-byte Folded Spill
	v_add_f64 v[122:123], v[6:7], v[30:31]
	ds_load_b128 v[4:7], v64 offset:240
	ds_load_b128 v[34:37], v64 offset:720
	ds_load_b128 v[28:31], v64 offset:1200
	ds_load_b128 v[50:53], v64 offset:1680
	ds_load_b128 v[60:63], v64 offset:2160
	s_waitcnt lgkmcnt(3)
	v_add_f64 v[20:21], v[4:5], v[34:35]
	s_waitcnt lgkmcnt(2)
	v_add_f64 v[22:23], v[28:29], -v[34:35]
	s_waitcnt lgkmcnt(1)
	v_add_f64 v[32:33], v[28:29], v[50:51]
	v_add_f64 v[56:57], v[34:35], -v[28:29]
	v_add_f64 v[42:43], v[30:31], v[52:53]
	v_add_f64 v[58:59], v[36:37], -v[30:31]
	v_add_f64 v[46:47], v[30:31], -v[36:37]
	s_waitcnt lgkmcnt(0)
	v_add_f64 v[71:72], v[34:35], v[60:61]
	v_add_f64 v[75:76], v[36:37], v[62:63]
	v_add_f64 v[65:66], v[60:61], -v[50:51]
	v_add_f64 v[128:129], v[62:63], -v[52:53]
	v_add_f64 v[38:39], v[20:21], v[28:29]
	v_add_f64 v[20:21], v[6:7], v[36:37]
	scratch_store_b64 off, v[22:23], off offset:608 ; 8-byte Folded Spill
	v_add_f64 v[22:23], v[28:29], -v[50:51]
	v_add_f64 v[28:29], v[34:35], -v[60:61]
	v_fma_f64 v[254:255], v[42:43], -0.5, v[6:7]
	v_add_f64 v[65:66], v[56:57], v[65:66]
	v_add_f64 v[34:35], v[38:39], v[50:51]
	;; [unrolled: 1-line block ×3, first 2 shown]
	v_add_f64 v[20:21], v[30:31], -v[52:53]
	v_add_f64 v[30:31], v[36:37], -v[62:63]
	;; [unrolled: 1-line block ×3, first 2 shown]
	v_add_f64 v[77:78], v[34:35], v[60:61]
	v_add_f64 v[36:37], v[40:41], v[52:53]
	v_add_f64 v[52:53], v[52:53], -v[62:63]
	s_delay_alu instid0(VALU_DEP_3) | instskip(NEXT) | instid1(VALU_DEP_3)
	v_add_f64 v[8:9], v[120:121], -v[77:78]
	v_add_f64 v[79:80], v[36:37], v[62:63]
	ds_load_b128 v[124:127], v64 offset:80
	ds_load_b128 v[34:37], v64 offset:560
	;; [unrolled: 1-line block ×5, first 2 shown]
	s_waitcnt lgkmcnt(3)
	v_add_f64 v[38:39], v[124:125], v[34:35]
	v_add_f64 v[40:41], v[126:127], v[36:37]
	s_waitcnt lgkmcnt(1)
	v_add_f64 v[81:82], v[60:61], v[136:137]
	v_add_f64 v[48:49], v[62:63], -v[138:139]
	v_add_f64 v[134:135], v[34:35], -v[60:61]
	;; [unrolled: 1-line block ×3, first 2 shown]
	v_add_f64 v[83:84], v[62:63], v[138:139]
	v_add_f64 v[54:55], v[60:61], -v[136:137]
	v_add_f64 v[142:143], v[36:37], -v[62:63]
	;; [unrolled: 1-line block ×3, first 2 shown]
	s_waitcnt lgkmcnt(0)
	v_add_f64 v[85:86], v[34:35], v[150:151]
	v_add_f64 v[87:88], v[36:37], v[152:153]
	v_add_f64 v[146:147], v[150:151], -v[136:137]
	v_add_f64 v[148:149], v[152:153], -v[138:139]
	;; [unrolled: 1-line block ×3, first 2 shown]
	v_add_f64 v[38:39], v[38:39], v[60:61]
	v_add_f64 v[40:41], v[40:41], v[62:63]
	v_add_f64 v[60:61], v[36:37], -v[152:153]
	v_add_f64 v[62:63], v[34:35], -v[150:151]
	v_fma_f64 v[248:249], v[85:86], -0.5, v[124:125]
	v_fma_f64 v[246:247], v[87:88], -0.5, v[126:127]
	v_add_f64 v[34:35], v[38:39], v[136:137]
	v_add_f64 v[36:37], v[40:41], v[138:139]
	v_add_f64 v[136:137], v[136:137], -v[150:151]
	v_add_f64 v[138:139], v[138:139], -v[152:153]
	s_delay_alu instid0(VALU_DEP_4) | instskip(NEXT) | instid1(VALU_DEP_4)
	v_add_f64 v[89:90], v[34:35], v[150:151]
	v_add_f64 v[91:92], v[36:37], v[152:153]
	ds_load_b128 v[34:37], v64 offset:800
	ds_load_b128 v[208:211], v64 offset:320
	;; [unrolled: 1-line block ×5, first 2 shown]
	s_waitcnt lgkmcnt(3)
	v_add_f64 v[38:39], v[208:209], v[34:35]
	v_add_f64 v[40:41], v[210:211], v[36:37]
	s_waitcnt lgkmcnt(1)
	v_add_f64 v[93:94], v[150:151], v[164:165]
	v_add_f64 v[140:141], v[152:153], -v[166:167]
	v_add_f64 v[160:161], v[34:35], -v[150:151]
	;; [unrolled: 1-line block ×3, first 2 shown]
	v_add_f64 v[95:96], v[152:153], v[166:167]
	v_add_f64 v[144:145], v[150:151], -v[164:165]
	v_add_f64 v[168:169], v[36:37], -v[152:153]
	;; [unrolled: 1-line block ×3, first 2 shown]
	s_waitcnt lgkmcnt(0)
	v_add_f64 v[97:98], v[34:35], v[170:171]
	v_add_f64 v[99:100], v[36:37], v[172:173]
	v_add_f64 v[174:175], v[170:171], -v[164:165]
	v_add_f64 v[176:177], v[172:173], -v[166:167]
	v_add_f64 v[38:39], v[38:39], v[150:151]
	v_add_f64 v[40:41], v[40:41], v[152:153]
	v_add_f64 v[152:153], v[36:37], -v[172:173]
	v_add_f64 v[150:151], v[34:35], -v[170:171]
	v_fma_f64 v[240:241], v[93:94], -0.5, v[208:209]
	v_fma_f64 v[238:239], v[95:96], -0.5, v[210:211]
	v_fma_f64 v[95:96], v[54:55], s[16:17], v[246:247]
	v_fma_f64 v[244:245], v[97:98], -0.5, v[208:209]
	v_fma_f64 v[242:243], v[99:100], -0.5, v[210:211]
	v_add_f64 v[34:35], v[38:39], v[164:165]
	v_add_f64 v[36:37], v[40:41], v[166:167]
	v_add_f64 v[164:165], v[164:165], -v[170:171]
	v_add_f64 v[166:167], v[166:167], -v[172:173]
	v_fma_f64 v[95:96], v[62:63], s[14:15], v[95:96]
	v_add_f64 v[101:102], v[34:35], v[170:171]
	v_add_f64 v[103:104], v[36:37], v[172:173]
	ds_load_b128 v[216:219], v64 offset:160
	ds_load_b128 v[34:37], v64 offset:640
	;; [unrolled: 1-line block ×5, first 2 shown]
	s_waitcnt lgkmcnt(3)
	v_add_f64 v[38:39], v[216:217], v[34:35]
	v_add_f64 v[40:41], v[218:219], v[36:37]
	s_waitcnt lgkmcnt(1)
	v_add_f64 v[105:106], v[170:171], v[186:187]
	v_add_f64 v[156:157], v[172:173], -v[188:189]
	v_add_f64 v[182:183], v[34:35], -v[170:171]
	;; [unrolled: 1-line block ×3, first 2 shown]
	v_add_f64 v[107:108], v[172:173], v[188:189]
	v_add_f64 v[162:163], v[170:171], -v[186:187]
	v_add_f64 v[190:191], v[36:37], -v[172:173]
	;; [unrolled: 1-line block ×3, first 2 shown]
	s_waitcnt lgkmcnt(0)
	v_add_f64 v[109:110], v[34:35], v[198:199]
	v_add_f64 v[111:112], v[36:37], v[200:201]
	v_add_f64 v[194:195], v[198:199], -v[186:187]
	v_add_f64 v[196:197], v[200:201], -v[188:189]
	v_add_f64 v[38:39], v[38:39], v[170:171]
	v_add_f64 v[40:41], v[40:41], v[172:173]
	v_add_f64 v[170:171], v[36:37], -v[200:201]
	v_add_f64 v[172:173], v[34:35], -v[198:199]
	v_fma_f64 v[208:209], v[105:106], -0.5, v[216:217]
	v_fma_f64 v[210:211], v[107:108], -0.5, v[218:219]
	v_add_f64 v[34:35], v[38:39], v[186:187]
	v_add_f64 v[36:37], v[40:41], v[188:189]
	v_add_f64 v[186:187], v[186:187], -v[198:199]
	v_add_f64 v[188:189], v[188:189], -v[200:201]
	s_delay_alu instid0(VALU_DEP_4) | instskip(NEXT) | instid1(VALU_DEP_4)
	v_add_f64 v[113:114], v[34:35], v[198:199]
	v_add_f64 v[115:116], v[36:37], v[200:201]
	ds_load_b128 v[38:41], v64 offset:400
	ds_load_b128 v[34:37], v64 offset:880
	scratch_load_b32 v106, off, off offset:560 ; 4-byte Folded Reload
	ds_load_b128 v[198:201], v64 offset:1360
	ds_load_b128 v[212:215], v64 offset:1840
	;; [unrolled: 1-line block ×3, first 2 shown]
	s_waitcnt vmcnt(0) lgkmcnt(0)
	s_waitcnt_vscnt null, 0x0
	s_barrier
	buffer_gl0_inv
	v_add_f64 v[117:118], v[38:39], v[34:35]
	v_add_f64 v[184:185], v[40:41], v[36:37]
	v_add_f64 v[206:207], v[34:35], -v[198:199]
	v_add_f64 v[230:231], v[198:199], v[212:213]
	v_add_f64 v[202:203], v[198:199], -v[34:35]
	;; [unrolled: 2-line block ×3, first 2 shown]
	v_add_f64 v[220:221], v[36:37], -v[200:201]
	v_add_f64 v[204:205], v[200:201], -v[36:37]
	v_add_f64 v[228:229], v[34:35], v[222:223]
	v_add_f64 v[234:235], v[36:37], v[224:225]
	v_add_f64 v[232:233], v[224:225], -v[214:215]
	v_add_f64 v[117:118], v[117:118], v[198:199]
	v_add_f64 v[226:227], v[184:185], v[200:201]
	v_add_f64 v[184:185], v[200:201], -v[214:215]
	v_add_f64 v[200:201], v[36:37], -v[224:225]
	;; [unrolled: 1-line block ×3, first 2 shown]
	v_fma_f64 v[42:43], v[228:229], -0.5, v[38:39]
	v_add_f64 v[34:35], v[117:118], v[212:213]
	v_add_f64 v[36:37], v[226:227], v[214:215]
	v_add_f64 v[117:118], v[222:223], -v[212:213]
	v_add_f64 v[212:213], v[212:213], -v[222:223]
	;; [unrolled: 1-line block ×3, first 2 shown]
	v_add_f64 v[226:227], v[34:35], v[222:223]
	v_add_f64 v[236:237], v[36:37], v[224:225]
	;; [unrolled: 1-line block ×4, first 2 shown]
	v_fma_f64 v[36:37], v[32:33], -0.5, v[4:5]
	v_fma_f64 v[32:33], v[71:72], -0.5, v[4:5]
	;; [unrolled: 1-line block ×7, first 2 shown]
	v_mul_lo_u16 v40, v68, 10
	v_fma_f64 v[34:35], v[75:76], -0.5, v[6:7]
	v_fma_f64 v[75:76], v[81:82], -0.5, v[124:125]
	;; [unrolled: 1-line block ×3, first 2 shown]
	v_add_f64 v[120:121], v[89:90], v[101:102]
	v_and_b32_e32 v40, 0xffff, v40
	v_add_f64 v[4:5], v[89:90], -v[101:102]
	v_add_f64 v[89:90], v[46:47], v[52:53]
	v_add_f64 v[122:123], v[91:92], v[103:104]
	v_add_f64 v[6:7], v[91:92], -v[103:104]
	v_add_f64 v[0:1], v[113:114], v[226:227]
	v_add_f64 v[2:3], v[115:116], v[236:237]
	v_add_f64 v[124:125], v[113:114], -v[226:227]
	v_add_f64 v[126:127], v[115:116], -v[236:237]
	v_fma_f64 v[46:47], v[20:21], s[18:19], v[32:33]
	s_delay_alu instid0(VALU_DEP_1)
	v_fma_f64 v[46:47], v[30:31], s[12:13], v[46:47]
	v_lshl_add_u32 v86, v40, 4, v106
	ds_store_b128 v86, v[222:225]
	ds_store_b128 v86, v[8:11] offset:80
	scratch_load_b64 v[8:9], off, off offset:576 ; 8-byte Folded Reload
	v_fma_f64 v[10:11], v[28:29], s[18:19], v[254:255]
	s_delay_alu instid0(VALU_DEP_1) | instskip(SKIP_4) | instid1(VALU_DEP_1)
	v_fma_f64 v[10:11], v[22:23], s[14:15], v[10:11]
	s_waitcnt vmcnt(0)
	v_add_f64 v[40:41], v[8:9], v[73:74]
	scratch_load_b64 v[8:9], off, off offset:592 ; 8-byte Folded Reload
	v_add_f64 v[73:74], v[58:59], v[128:129]
	v_fma_f64 v[10:11], v[73:74], s[2:3], v[10:11]
	s_waitcnt vmcnt(0)
	v_add_f64 v[68:69], v[8:9], v[44:45]
	v_fma_f64 v[8:9], v[30:31], s[16:17], v[36:37]
	s_delay_alu instid0(VALU_DEP_1) | instskip(NEXT) | instid1(VALU_DEP_1)
	v_fma_f64 v[8:9], v[20:21], s[12:13], v[8:9]
	v_fma_f64 v[8:9], v[65:66], s[2:3], v[8:9]
	s_delay_alu instid0(VALU_DEP_1) | instskip(SKIP_1) | instid1(VALU_DEP_2)
	v_mul_f64 v[44:45], v[8:9], s[24:25]
	v_mul_f64 v[8:9], v[8:9], s[14:15]
	v_fma_f64 v[44:45], v[10:11], s[12:13], v[44:45]
	s_delay_alu instid0(VALU_DEP_2) | instskip(SKIP_2) | instid1(VALU_DEP_2)
	v_fma_f64 v[58:59], v[10:11], s[24:25], v[8:9]
	v_fma_f64 v[8:9], v[16:17], s[16:17], v[250:251]
	;; [unrolled: 1-line block ×4, first 2 shown]
	s_delay_alu instid0(VALU_DEP_2) | instskip(NEXT) | instid1(VALU_DEP_2)
	v_fma_f64 v[10:11], v[14:15], s[14:15], v[10:11]
	v_fma_f64 v[56:57], v[40:41], s[2:3], v[8:9]
	s_delay_alu instid0(VALU_DEP_2) | instskip(NEXT) | instid1(VALU_DEP_2)
	v_fma_f64 v[81:82], v[68:69], s[2:3], v[10:11]
	v_add_f64 v[8:9], v[56:57], v[44:45]
	s_delay_alu instid0(VALU_DEP_2)
	v_add_f64 v[10:11], v[81:82], v[58:59]
	v_add_f64 v[56:57], v[56:57], -v[44:45]
	v_add_f64 v[58:59], v[81:82], -v[58:59]
	s_clause 0x1
	scratch_load_b64 v[44:45], off, off offset:496
	scratch_load_b64 v[81:82], off, off offset:528
	s_waitcnt vmcnt(0)
	v_add_f64 v[81:82], v[44:45], v[81:82]
	s_clause 0x1
	scratch_load_b64 v[44:45], off, off offset:512
	scratch_load_b64 v[83:84], off, off offset:544
	s_waitcnt vmcnt(0)
	v_add_f64 v[83:84], v[44:45], v[83:84]
	scratch_load_b64 v[44:45], off, off offset:608 ; 8-byte Folded Reload
	s_waitcnt vmcnt(0)
	v_add_f64 v[87:88], v[44:45], v[50:51]
	v_fma_f64 v[44:45], v[22:23], s[16:17], v[34:35]
	s_delay_alu instid0(VALU_DEP_2) | instskip(NEXT) | instid1(VALU_DEP_2)
	v_fma_f64 v[46:47], v[87:88], s[2:3], v[46:47]
	v_fma_f64 v[44:45], v[28:29], s[14:15], v[44:45]
	s_delay_alu instid0(VALU_DEP_1) | instskip(NEXT) | instid1(VALU_DEP_1)
	v_fma_f64 v[44:45], v[89:90], s[2:3], v[44:45]
	v_mul_f64 v[50:51], v[44:45], s[16:17]
	s_delay_alu instid0(VALU_DEP_1) | instskip(SKIP_1) | instid1(VALU_DEP_1)
	v_fma_f64 v[50:51], v[46:47], s[2:3], v[50:51]
	v_mul_f64 v[46:47], v[46:47], s[18:19]
	v_fma_f64 v[52:53], v[44:45], s[2:3], v[46:47]
	v_fma_f64 v[44:45], v[12:13], s[18:19], v[24:25]
	;; [unrolled: 1-line block ×4, first 2 shown]
	s_delay_alu instid0(VALU_DEP_3) | instskip(NEXT) | instid1(VALU_DEP_3)
	v_fma_f64 v[44:45], v[16:17], s[12:13], v[44:45]
	v_fma_f64 v[24:25], v[16:17], s[14:15], v[24:25]
	s_delay_alu instid0(VALU_DEP_3) | instskip(SKIP_1) | instid1(VALU_DEP_4)
	v_fma_f64 v[46:47], v[18:19], s[14:15], v[46:47]
	v_fma_f64 v[16:17], v[16:17], s[18:19], v[250:251]
	;; [unrolled: 1-line block ×3, first 2 shown]
	s_delay_alu instid0(VALU_DEP_4)
	v_fma_f64 v[81:82], v[81:82], s[2:3], v[24:25]
	v_fma_f64 v[24:25], v[14:15], s[18:19], v[26:27]
	v_fma_f64 v[93:94], v[83:84], s[2:3], v[46:47]
	v_fma_f64 v[26:27], v[22:23], s[18:19], v[34:35]
	v_fma_f64 v[12:13], v[12:13], s[14:15], v[16:17]
	v_add_f64 v[44:45], v[91:92], v[50:51]
	v_add_f64 v[50:51], v[91:92], -v[50:51]
	v_fma_f64 v[24:25], v[18:19], s[12:13], v[24:25]
	v_fma_f64 v[18:19], v[18:19], s[16:17], v[252:253]
	;; [unrolled: 1-line block ×5, first 2 shown]
	v_add_f64 v[46:47], v[93:94], v[52:53]
	v_add_f64 v[52:53], v[93:94], -v[52:53]
	v_fma_f64 v[83:84], v[83:84], s[2:3], v[24:25]
	v_fma_f64 v[24:25], v[20:21], s[16:17], v[32:33]
	;; [unrolled: 1-line block ×10, first 2 shown]
	v_add_f64 v[68:69], v[168:169], v[176:177]
	v_fma_f64 v[89:90], v[150:151], s[14:15], v[89:90]
	v_add_f64 v[36:37], v[134:135], v[146:147]
	v_fma_f64 v[24:25], v[87:88], s[2:3], v[24:25]
	v_fma_f64 v[20:21], v[20:21], s[14:15], v[30:31]
	v_add_f64 v[87:88], v[158:159], v[166:167]
	s_delay_alu instid0(VALU_DEP_3) | instskip(NEXT) | instid1(VALU_DEP_3)
	v_mul_f64 v[32:33], v[24:25], s[26:27]
	v_fma_f64 v[18:19], v[65:66], s[2:3], v[20:21]
	v_fma_f64 v[20:21], v[40:41], s[2:3], v[12:13]
	;; [unrolled: 1-line block ×3, first 2 shown]
	v_add_f64 v[65:66], v[160:161], v[174:175]
	v_add_f64 v[40:41], v[142:143], v[148:149]
	v_fma_f64 v[89:90], v[87:88], s[2:3], v[89:90]
	v_fma_f64 v[32:33], v[26:27], s[16:17], v[32:33]
	v_mul_f64 v[14:15], v[18:19], s[28:29]
	v_mul_f64 v[26:27], v[26:27], s[26:27]
	s_delay_alu instid0(VALU_DEP_4) | instskip(NEXT) | instid1(VALU_DEP_3)
	v_mul_f64 v[93:94], v[89:90], s[16:17]
	v_fma_f64 v[16:17], v[12:13], s[12:13], v[14:15]
	v_mul_f64 v[12:13], v[12:13], s[28:29]
	s_delay_alu instid0(VALU_DEP_4) | instskip(SKIP_2) | instid1(VALU_DEP_4)
	v_fma_f64 v[34:35], v[24:25], s[18:19], v[26:27]
	v_add_f64 v[24:25], v[81:82], v[32:33]
	v_add_f64 v[32:33], v[81:82], -v[32:33]
	v_fma_f64 v[18:19], v[18:19], s[14:15], v[12:13]
	v_add_f64 v[12:13], v[20:21], v[16:17]
	v_add_f64 v[16:17], v[20:21], -v[16:17]
	;; [unrolled: 3-line block ×3, first 2 shown]
	v_add_f64 v[83:84], v[154:155], v[164:165]
	v_add_f64 v[14:15], v[22:23], v[18:19]
	v_add_f64 v[18:19], v[22:23], -v[18:19]
	v_fma_f64 v[22:23], v[150:151], s[18:19], v[238:239]
	v_fma_f64 v[20:21], v[140:141], s[12:13], v[20:21]
	ds_store_b128 v86, v[8:11] offset:16
	ds_store_b128 v86, v[44:47] offset:32
	;; [unrolled: 1-line block ×8, first 2 shown]
	v_fma_f64 v[91:92], v[83:84], s[2:3], v[91:92]
	v_fma_f64 v[22:23], v[144:145], s[14:15], v[22:23]
	v_fma_f64 v[20:21], v[65:66], s[2:3], v[20:21]
	s_delay_alu instid0(VALU_DEP_3) | instskip(SKIP_1) | instid1(VALU_DEP_4)
	v_fma_f64 v[93:94], v[91:92], s[2:3], v[93:94]
	v_mul_f64 v[91:92], v[91:92], s[18:19]
	v_fma_f64 v[22:23], v[68:69], s[2:3], v[22:23]
	s_delay_alu instid0(VALU_DEP_4) | instskip(SKIP_1) | instid1(VALU_DEP_4)
	v_mul_f64 v[28:29], v[20:21], s[24:25]
	v_mul_f64 v[20:21], v[20:21], s[14:15]
	v_fma_f64 v[89:90], v[89:90], s[2:3], v[91:92]
	v_fma_f64 v[91:92], v[48:49], s[18:19], v[248:249]
	s_delay_alu instid0(VALU_DEP_4) | instskip(NEXT) | instid1(VALU_DEP_4)
	v_fma_f64 v[28:29], v[22:23], s[12:13], v[28:29]
	v_fma_f64 v[30:31], v[22:23], s[24:25], v[20:21]
	;; [unrolled: 1-line block ×5, first 2 shown]
	s_delay_alu instid0(VALU_DEP_3) | instskip(NEXT) | instid1(VALU_DEP_3)
	v_fma_f64 v[22:23], v[54:55], s[14:15], v[22:23]
	v_fma_f64 v[20:21], v[48:49], s[12:13], v[20:21]
	s_delay_alu instid0(VALU_DEP_2) | instskip(NEXT) | instid1(VALU_DEP_2)
	v_fma_f64 v[81:82], v[40:41], s[2:3], v[22:23]
	v_fma_f64 v[73:74], v[36:37], s[2:3], v[20:21]
	s_delay_alu instid0(VALU_DEP_2) | instskip(SKIP_2) | instid1(VALU_DEP_4)
	v_add_f64 v[22:23], v[81:82], v[30:31]
	v_add_f64 v[30:31], v[81:82], -v[30:31]
	v_add_f64 v[81:82], v[132:133], v[138:139]
	v_add_f64 v[20:21], v[73:74], v[28:29]
	v_add_f64 v[28:29], v[73:74], -v[28:29]
	v_add_f64 v[73:74], v[130:131], v[136:137]
	s_delay_alu instid0(VALU_DEP_4) | instskip(NEXT) | instid1(VALU_DEP_2)
	v_fma_f64 v[95:96], v[81:82], s[2:3], v[95:96]
	v_fma_f64 v[91:92], v[73:74], s[2:3], v[91:92]
	s_delay_alu instid0(VALU_DEP_2) | instskip(SKIP_2) | instid1(VALU_DEP_4)
	v_add_f64 v[130:131], v[95:96], v[89:90]
	v_add_f64 v[134:135], v[95:96], -v[89:90]
	v_fma_f64 v[89:90], v[48:49], s[16:17], v[248:249]
	v_add_f64 v[128:129], v[91:92], v[93:94]
	v_add_f64 v[132:133], v[91:92], -v[93:94]
	s_delay_alu instid0(VALU_DEP_3) | instskip(SKIP_2) | instid1(VALU_DEP_3)
	v_fma_f64 v[89:90], v[60:61], s[14:15], v[89:90]
	v_fma_f64 v[60:61], v[60:61], s[18:19], v[75:76]
	;; [unrolled: 1-line block ×5, first 2 shown]
	s_delay_alu instid0(VALU_DEP_4) | instskip(NEXT) | instid1(VALU_DEP_4)
	v_fma_f64 v[48:49], v[48:49], s[14:15], v[60:61]
	v_fma_f64 v[60:61], v[144:145], s[12:13], v[75:76]
	;; [unrolled: 1-line block ×3, first 2 shown]
	s_delay_alu instid0(VALU_DEP_4)
	v_fma_f64 v[89:90], v[62:63], s[12:13], v[89:90]
	v_fma_f64 v[62:63], v[62:63], s[16:17], v[79:80]
	;; [unrolled: 1-line block ×4, first 2 shown]
	v_add_f64 v[68:69], v[220:221], v[232:233]
	v_fma_f64 v[75:76], v[162:163], s[14:15], v[75:76]
	v_fma_f64 v[79:80], v[192:193], s[16:17], v[38:39]
	;; [unrolled: 1-line block ×8, first 2 shown]
	s_delay_alu instid0(VALU_DEP_4) | instskip(NEXT) | instid1(VALU_DEP_4)
	v_fma_f64 v[89:90], v[152:153], s[14:15], v[89:90]
	v_fma_f64 v[40:41], v[40:41], s[2:3], v[54:55]
	s_delay_alu instid0(VALU_DEP_2) | instskip(SKIP_1) | instid1(VALU_DEP_1)
	v_fma_f64 v[83:84], v[83:84], s[2:3], v[89:90]
	v_fma_f64 v[89:90], v[144:145], s[18:19], v[242:243]
	v_fma_f64 v[89:90], v[150:151], s[12:13], v[89:90]
	s_delay_alu instid0(VALU_DEP_1) | instskip(NEXT) | instid1(VALU_DEP_4)
	v_fma_f64 v[87:88], v[87:88], s[2:3], v[89:90]
	v_mul_f64 v[89:90], v[83:84], s[26:27]
	s_delay_alu instid0(VALU_DEP_1) | instskip(SKIP_1) | instid1(VALU_DEP_2)
	v_fma_f64 v[89:90], v[87:88], s[16:17], v[89:90]
	v_mul_f64 v[87:88], v[87:88], s[26:27]
	v_add_f64 v[136:137], v[73:74], v[89:90]
	v_add_f64 v[146:147], v[73:74], -v[89:90]
	v_fma_f64 v[73:74], v[152:153], s[18:19], v[240:241]
	s_delay_alu instid0(VALU_DEP_4) | instskip(SKIP_1) | instid1(VALU_DEP_3)
	v_fma_f64 v[83:84], v[83:84], s[18:19], v[87:88]
	v_fma_f64 v[87:88], v[162:163], s[16:17], v[77:78]
	;; [unrolled: 1-line block ×3, first 2 shown]
	s_delay_alu instid0(VALU_DEP_3)
	v_add_f64 v[138:139], v[81:82], v[83:84]
	v_add_f64 v[148:149], v[81:82], -v[83:84]
	v_fma_f64 v[81:82], v[184:185], s[18:19], v[42:43]
	v_fma_f64 v[87:88], v[172:173], s[14:15], v[87:88]
	;; [unrolled: 1-line block ×3, first 2 shown]
	v_add_f64 v[65:66], v[206:207], v[117:118]
	s_delay_alu instid0(VALU_DEP_4) | instskip(NEXT) | instid1(VALU_DEP_3)
	v_fma_f64 v[81:82], v[200:201], s[12:13], v[81:82]
	v_mul_f64 v[54:55], v[62:63], s[28:29]
	s_delay_alu instid0(VALU_DEP_1) | instskip(SKIP_1) | instid1(VALU_DEP_2)
	v_fma_f64 v[54:55], v[48:49], s[12:13], v[54:55]
	v_mul_f64 v[48:49], v[48:49], s[28:29]
	v_add_f64 v[60:61], v[36:37], v[54:55]
	s_delay_alu instid0(VALU_DEP_2) | instskip(SKIP_3) | instid1(VALU_DEP_4)
	v_fma_f64 v[48:49], v[62:63], s[14:15], v[48:49]
	v_add_f64 v[140:141], v[36:37], -v[54:55]
	v_fma_f64 v[36:37], v[200:201], s[16:17], v[218:219]
	v_add_f64 v[54:55], v[190:191], v[196:197]
	v_add_f64 v[62:63], v[40:41], v[48:49]
	v_add_f64 v[142:143], v[40:41], -v[48:49]
	s_delay_alu instid0(VALU_DEP_4) | instskip(SKIP_3) | instid1(VALU_DEP_4)
	v_fma_f64 v[36:37], v[184:185], s[12:13], v[36:37]
	v_fma_f64 v[40:41], v[198:199], s[18:19], v[216:217]
	v_add_f64 v[48:49], v[182:183], v[194:195]
	v_fma_f64 v[75:76], v[54:55], s[2:3], v[75:76]
	v_fma_f64 v[36:37], v[65:66], s[2:3], v[36:37]
	s_delay_alu instid0(VALU_DEP_4) | instskip(NEXT) | instid1(VALU_DEP_2)
	v_fma_f64 v[40:41], v[192:193], s[14:15], v[40:41]
	v_mul_f64 v[73:74], v[36:37], s[24:25]
	s_delay_alu instid0(VALU_DEP_2) | instskip(SKIP_1) | instid1(VALU_DEP_2)
	v_fma_f64 v[40:41], v[68:69], s[2:3], v[40:41]
	v_mul_f64 v[36:37], v[36:37], s[14:15]
	v_fma_f64 v[73:74], v[40:41], s[12:13], v[73:74]
	s_delay_alu instid0(VALU_DEP_2) | instskip(SKIP_1) | instid1(VALU_DEP_2)
	v_fma_f64 v[36:37], v[40:41], s[24:25], v[36:37]
	v_fma_f64 v[40:41], v[170:171], s[16:17], v[208:209]
	v_add_f64 v[152:153], v[75:76], v[36:37]
	s_delay_alu instid0(VALU_DEP_2) | instskip(SKIP_3) | instid1(VALU_DEP_4)
	v_fma_f64 v[40:41], v[156:157], s[12:13], v[40:41]
	v_add_f64 v[160:161], v[75:76], -v[36:37]
	v_add_f64 v[75:76], v[204:205], v[214:215]
	v_add_f64 v[36:37], v[178:179], v[186:187]
	v_fma_f64 v[40:41], v[48:49], s[2:3], v[40:41]
	s_delay_alu instid0(VALU_DEP_3) | instskip(SKIP_1) | instid1(VALU_DEP_3)
	v_fma_f64 v[79:80], v[75:76], s[2:3], v[79:80]
	v_fma_f64 v[38:39], v[75:76], s[2:3], v[38:39]
	v_add_f64 v[150:151], v[40:41], v[73:74]
	v_add_f64 v[158:159], v[40:41], -v[73:74]
	v_add_f64 v[73:74], v[202:203], v[212:213]
	v_mul_f64 v[83:84], v[79:80], s[16:17]
	v_add_f64 v[40:41], v[180:181], v[188:189]
	s_delay_alu instid0(VALU_DEP_3) | instskip(NEXT) | instid1(VALU_DEP_2)
	v_fma_f64 v[81:82], v[73:74], s[2:3], v[81:82]
	v_fma_f64 v[87:88], v[40:41], s[2:3], v[87:88]
	s_delay_alu instid0(VALU_DEP_2) | instskip(SKIP_1) | instid1(VALU_DEP_1)
	v_fma_f64 v[83:84], v[81:82], s[2:3], v[83:84]
	v_mul_f64 v[81:82], v[81:82], s[18:19]
	v_fma_f64 v[79:80], v[79:80], s[2:3], v[81:82]
	v_fma_f64 v[81:82], v[156:157], s[18:19], v[71:72]
	;; [unrolled: 1-line block ×3, first 2 shown]
	s_delay_alu instid0(VALU_DEP_3) | instskip(NEXT) | instid1(VALU_DEP_3)
	v_add_f64 v[166:167], v[87:88], v[79:80]
	v_fma_f64 v[81:82], v[170:171], s[12:13], v[81:82]
	s_delay_alu instid0(VALU_DEP_3) | instskip(SKIP_3) | instid1(VALU_DEP_2)
	v_fma_f64 v[70:71], v[170:171], s[14:15], v[70:71]
	v_add_f64 v[176:177], v[87:88], -v[79:80]
	v_add_nc_u32_e32 v79, 5, v119
	v_mov_b32_e32 v237, v119
	v_mul_u32_u24_e32 v8, 10, v79
	s_delay_alu instid0(VALU_DEP_1)
	v_lshl_add_u32 v87, v8, 4, v106
	ds_store_b128 v87, v[120:123]
	ds_store_b128 v87, v[20:23] offset:16
	ds_store_b128 v87, v[128:131] offset:32
	ds_store_b128 v87, v[136:139] offset:48
	ds_store_b128 v87, v[60:63] offset:64
	ds_store_b128 v87, v[4:7] offset:80
	ds_store_b128 v87, v[28:31] offset:96
	ds_store_b128 v87, v[132:135] offset:112
	ds_store_b128 v87, v[146:149] offset:128
	ds_store_b128 v87, v[140:143] offset:144
	v_lshlrev_b32_e32 v6, 6, v237
	v_fma_f64 v[81:82], v[36:37], s[2:3], v[81:82]
	v_fma_f64 v[70:71], v[36:37], s[2:3], v[70:71]
	;; [unrolled: 1-line block ×3, first 2 shown]
	s_delay_alu instid0(VALU_DEP_3) | instskip(SKIP_1) | instid1(VALU_DEP_3)
	v_add_f64 v[164:165], v[81:82], v[83:84]
	v_add_f64 v[174:175], v[81:82], -v[83:84]
	v_fma_f64 v[36:37], v[172:173], s[12:13], v[36:37]
	s_delay_alu instid0(VALU_DEP_1) | instskip(SKIP_1) | instid1(VALU_DEP_1)
	v_fma_f64 v[77:78], v[40:41], s[2:3], v[36:37]
	v_fma_f64 v[36:37], v[184:185], s[16:17], v[42:43]
	v_fma_f64 v[36:37], v[200:201], s[14:15], v[36:37]
	s_delay_alu instid0(VALU_DEP_1) | instskip(SKIP_2) | instid1(VALU_DEP_3)
	v_fma_f64 v[36:37], v[73:74], s[2:3], v[36:37]
	v_fma_f64 v[72:73], v[170:171], s[18:19], v[208:209]
	;; [unrolled: 1-line block ×3, first 2 shown]
	v_mul_f64 v[40:41], v[36:37], s[26:27]
	s_delay_alu instid0(VALU_DEP_3) | instskip(NEXT) | instid1(VALU_DEP_3)
	v_fma_f64 v[72:73], v[156:157], s[14:15], v[72:73]
	v_fma_f64 v[74:75], v[162:163], s[12:13], v[74:75]
	s_delay_alu instid0(VALU_DEP_3) | instskip(SKIP_1) | instid1(VALU_DEP_4)
	v_fma_f64 v[40:41], v[38:39], s[16:17], v[40:41]
	v_mul_f64 v[38:39], v[38:39], s[26:27]
	v_fma_f64 v[48:49], v[48:49], s[2:3], v[72:73]
	s_delay_alu instid0(VALU_DEP_4) | instskip(NEXT) | instid1(VALU_DEP_3)
	v_fma_f64 v[54:55], v[54:55], s[2:3], v[74:75]
	v_fma_f64 v[42:43], v[36:37], s[18:19], v[38:39]
	v_add_f64 v[36:37], v[70:71], v[40:41]
	v_add_f64 v[40:41], v[70:71], -v[40:41]
	v_fma_f64 v[70:71], v[200:201], s[18:19], v[218:219]
	s_delay_alu instid0(VALU_DEP_4) | instskip(SKIP_2) | instid1(VALU_DEP_4)
	v_add_f64 v[38:39], v[77:78], v[42:43]
	v_add_f64 v[42:43], v[77:78], -v[42:43]
	v_fma_f64 v[76:77], v[198:199], s[16:17], v[216:217]
	v_fma_f64 v[70:71], v[184:185], s[14:15], v[70:71]
	v_add_nc_u32_e32 v78, 10, v119
	s_delay_alu instid0(VALU_DEP_1) | instskip(NEXT) | instid1(VALU_DEP_1)
	v_mul_u32_u24_e32 v4, 10, v78
	v_lshl_add_u32 v207, v4, 4, v106
	v_fma_f64 v[76:77], v[192:193], s[12:13], v[76:77]
	v_fma_f64 v[65:66], v[65:66], s[2:3], v[70:71]
	s_delay_alu instid0(VALU_DEP_2) | instskip(NEXT) | instid1(VALU_DEP_2)
	v_fma_f64 v[68:69], v[68:69], s[2:3], v[76:77]
	v_mul_f64 v[70:71], v[65:66], s[28:29]
	s_delay_alu instid0(VALU_DEP_1) | instskip(SKIP_1) | instid1(VALU_DEP_2)
	v_fma_f64 v[70:71], v[68:69], s[12:13], v[70:71]
	v_mul_f64 v[68:69], v[68:69], s[28:29]
	v_add_f64 v[154:155], v[48:49], v[70:71]
	s_delay_alu instid0(VALU_DEP_2) | instskip(SKIP_1) | instid1(VALU_DEP_2)
	v_fma_f64 v[65:66], v[65:66], s[14:15], v[68:69]
	v_add_f64 v[168:169], v[48:49], -v[70:71]
	v_add_f64 v[156:157], v[54:55], v[65:66]
	v_add_f64 v[170:171], v[54:55], -v[65:66]
	ds_store_b128 v207, v[0:3]
	ds_store_b128 v207, v[150:153] offset:16
	ds_store_b128 v207, v[164:167] offset:32
	;; [unrolled: 1-line block ×9, first 2 shown]
	s_waitcnt lgkmcnt(0)
	s_barrier
	buffer_gl0_inv
	s_clause 0x3
	global_load_b128 v[233:236], v6, s[10:11]
	global_load_b128 v[156:159], v6, s[10:11] offset:16
	global_load_b128 v[160:163], v6, s[10:11] offset:32
	;; [unrolled: 1-line block ×3, first 2 shown]
	ds_load_b128 v[0:3], v64 offset:480
	v_lshlrev_b32_e32 v6, 6, v79
	v_add_co_u32 v68, null, v237, 20
	v_add_co_u32 v212, null, v237, 25
	s_clause 0x3
	global_load_b128 v[203:206], v6, s[10:11] offset:32
	global_load_b128 v[168:171], v6, s[10:11]
	global_load_b128 v[199:202], v6, s[10:11] offset:16
	global_load_b128 v[229:232], v6, s[10:11] offset:48
	ds_load_b128 v[195:198], v64 offset:160
	ds_load_b128 v[221:224], v64 offset:240
	s_waitcnt vmcnt(7) lgkmcnt(2)
	v_mul_f64 v[4:5], v[2:3], v[235:236]
	s_delay_alu instid0(VALU_DEP_1) | instskip(SKIP_1) | instid1(VALU_DEP_1)
	v_fma_f64 v[12:13], v[0:1], v[233:234], -v[4:5]
	v_mul_f64 v[0:1], v[0:1], v[235:236]
	v_fma_f64 v[14:15], v[2:3], v[233:234], v[0:1]
	ds_load_b128 v[0:3], v64 offset:960
	s_waitcnt vmcnt(6) lgkmcnt(0)
	v_mul_f64 v[4:5], v[2:3], v[158:159]
	s_delay_alu instid0(VALU_DEP_1) | instskip(SKIP_1) | instid1(VALU_DEP_1)
	v_fma_f64 v[16:17], v[0:1], v[156:157], -v[4:5]
	v_mul_f64 v[0:1], v[0:1], v[158:159]
	v_fma_f64 v[18:19], v[2:3], v[156:157], v[0:1]
	ds_load_b128 v[0:3], v64 offset:1440
	s_waitcnt vmcnt(5) lgkmcnt(0)
	v_mul_f64 v[4:5], v[2:3], v[162:163]
	s_delay_alu instid0(VALU_DEP_1) | instskip(SKIP_1) | instid1(VALU_DEP_2)
	v_fma_f64 v[20:21], v[0:1], v[160:161], -v[4:5]
	v_mul_f64 v[0:1], v[0:1], v[162:163]
	v_add_f64 v[100:101], v[16:17], -v[20:21]
	s_delay_alu instid0(VALU_DEP_2) | instskip(SKIP_4) | instid1(VALU_DEP_2)
	v_fma_f64 v[22:23], v[2:3], v[160:161], v[0:1]
	ds_load_b128 v[0:3], v64 offset:1920
	s_waitcnt vmcnt(4) lgkmcnt(0)
	v_mul_f64 v[4:5], v[2:3], v[166:167]
	v_add_f64 v[30:31], v[18:19], -v[22:23]
	v_fma_f64 v[24:25], v[0:1], v[164:165], -v[4:5]
	v_mul_f64 v[0:1], v[0:1], v[166:167]
	s_delay_alu instid0(VALU_DEP_2) | instskip(NEXT) | instid1(VALU_DEP_2)
	v_add_f64 v[98:99], v[12:13], -v[24:25]
	v_fma_f64 v[26:27], v[2:3], v[164:165], v[0:1]
	ds_load_b128 v[0:3], v64 offset:560
	s_waitcnt vmcnt(2) lgkmcnt(0)
	v_mul_f64 v[4:5], v[2:3], v[170:171]
	v_add_f64 v[28:29], v[14:15], -v[26:27]
	s_delay_alu instid0(VALU_DEP_2) | instskip(SKIP_1) | instid1(VALU_DEP_1)
	v_fma_f64 v[32:33], v[0:1], v[168:169], -v[4:5]
	v_mul_f64 v[0:1], v[0:1], v[170:171]
	v_fma_f64 v[34:35], v[2:3], v[168:169], v[0:1]
	ds_load_b128 v[0:3], v64 offset:1040
	s_waitcnt vmcnt(1) lgkmcnt(0)
	v_mul_f64 v[4:5], v[2:3], v[201:202]
	s_delay_alu instid0(VALU_DEP_1) | instskip(SKIP_1) | instid1(VALU_DEP_1)
	v_fma_f64 v[36:37], v[0:1], v[199:200], -v[4:5]
	v_mul_f64 v[0:1], v[0:1], v[201:202]
	v_fma_f64 v[38:39], v[2:3], v[199:200], v[0:1]
	ds_load_b128 v[0:3], v64 offset:1520
	s_waitcnt lgkmcnt(0)
	v_mul_f64 v[4:5], v[2:3], v[205:206]
	s_delay_alu instid0(VALU_DEP_1) | instskip(SKIP_1) | instid1(VALU_DEP_2)
	v_fma_f64 v[40:41], v[0:1], v[203:204], -v[4:5]
	v_mul_f64 v[0:1], v[0:1], v[205:206]
	v_add_f64 v[104:105], v[36:37], -v[40:41]
	s_delay_alu instid0(VALU_DEP_2) | instskip(SKIP_3) | instid1(VALU_DEP_1)
	v_fma_f64 v[69:70], v[2:3], v[203:204], v[0:1]
	ds_load_b128 v[0:3], v64 offset:2000
	s_waitcnt vmcnt(0) lgkmcnt(0)
	v_mul_f64 v[4:5], v[2:3], v[231:232]
	v_fma_f64 v[42:43], v[0:1], v[229:230], -v[4:5]
	v_mul_f64 v[0:1], v[0:1], v[231:232]
	s_delay_alu instid0(VALU_DEP_2) | instskip(NEXT) | instid1(VALU_DEP_2)
	v_add_f64 v[102:103], v[32:33], -v[42:43]
	v_fma_f64 v[76:77], v[2:3], v[229:230], v[0:1]
	ds_load_b128 v[0:3], v64 offset:640
	s_waitcnt lgkmcnt(0)
	v_mul_f64 v[4:5], v[2:3], v[235:236]
	s_delay_alu instid0(VALU_DEP_1) | instskip(SKIP_1) | instid1(VALU_DEP_1)
	v_fma_f64 v[80:81], v[0:1], v[233:234], -v[4:5]
	v_mul_f64 v[0:1], v[0:1], v[235:236]
	v_fma_f64 v[82:83], v[2:3], v[233:234], v[0:1]
	ds_load_b128 v[0:3], v64 offset:1120
	s_waitcnt lgkmcnt(0)
	v_mul_f64 v[4:5], v[2:3], v[158:159]
	s_delay_alu instid0(VALU_DEP_1) | instskip(SKIP_1) | instid1(VALU_DEP_1)
	v_fma_f64 v[84:85], v[0:1], v[156:157], -v[4:5]
	v_mul_f64 v[0:1], v[0:1], v[158:159]
	;; [unrolled: 7-line block ×8, first 2 shown]
	v_fma_f64 v[192:193], v[2:3], v[229:230], v[0:1]
	v_and_b32_e32 v0, 0xff, v68
	s_delay_alu instid0(VALU_DEP_1) | instskip(NEXT) | instid1(VALU_DEP_1)
	v_mul_lo_u16 v0, 0xcd, v0
	v_lshrrev_b16 v0, 11, v0
	s_delay_alu instid0(VALU_DEP_1) | instskip(NEXT) | instid1(VALU_DEP_1)
	v_mul_lo_u16 v0, v0, 10
	v_sub_nc_u16 v71, v68, v0
	s_delay_alu instid0(VALU_DEP_1) | instskip(NEXT) | instid1(VALU_DEP_1)
	v_lshlrev_b16 v0, 2, v71
	v_and_b32_e32 v0, 0xfc, v0
	s_delay_alu instid0(VALU_DEP_1)
	v_lshlrev_b32_e32 v6, 4, v0
	ds_load_b128 v[0:3], v64 offset:800
	global_load_b128 v[7:10], v6, s[10:11]
	s_waitcnt vmcnt(0) lgkmcnt(0)
	v_mul_f64 v[4:5], v[2:3], v[9:10]
	scratch_store_b128 off, v[7:10], off offset:496 ; 16-byte Folded Spill
	v_fma_f64 v[62:63], v[0:1], v[7:8], -v[4:5]
	v_mul_f64 v[0:1], v[0:1], v[9:10]
	s_delay_alu instid0(VALU_DEP_1)
	v_fma_f64 v[60:61], v[2:3], v[7:8], v[0:1]
	global_load_b128 v[7:10], v6, s[10:11] offset:16
	ds_load_b128 v[0:3], v64 offset:1280
	s_waitcnt vmcnt(0) lgkmcnt(0)
	v_mul_f64 v[4:5], v[2:3], v[9:10]
	scratch_store_b128 off, v[7:10], off offset:512 ; 16-byte Folded Spill
	v_fma_f64 v[154:155], v[0:1], v[7:8], -v[4:5]
	v_mul_f64 v[0:1], v[0:1], v[9:10]
	s_delay_alu instid0(VALU_DEP_1)
	v_fma_f64 v[65:66], v[2:3], v[7:8], v[0:1]
	global_load_b128 v[7:10], v6, s[10:11] offset:32
	ds_load_b128 v[0:3], v64 offset:1760
	;; [unrolled: 9-line block ×3, first 2 shown]
	s_waitcnt vmcnt(0) lgkmcnt(0)
	v_mul_f64 v[4:5], v[2:3], v[8:9]
	scratch_store_b128 off, v[6:9], off offset:544 ; 16-byte Folded Spill
	v_fma_f64 v[174:175], v[0:1], v[6:7], -v[4:5]
	v_mul_f64 v[0:1], v[0:1], v[8:9]
	s_delay_alu instid0(VALU_DEP_1) | instskip(SKIP_1) | instid1(VALU_DEP_1)
	v_fma_f64 v[176:177], v[2:3], v[6:7], v[0:1]
	v_and_b32_e32 v0, 0xff, v212
	v_mul_lo_u16 v0, 0xcd, v0
	s_delay_alu instid0(VALU_DEP_1) | instskip(NEXT) | instid1(VALU_DEP_1)
	v_lshrrev_b16 v0, 11, v0
	v_mul_lo_u16 v0, v0, 10
	s_delay_alu instid0(VALU_DEP_1) | instskip(NEXT) | instid1(VALU_DEP_1)
	v_sub_nc_u16 v194, v212, v0
	v_lshlrev_b16 v0, 2, v194
	s_delay_alu instid0(VALU_DEP_1) | instskip(NEXT) | instid1(VALU_DEP_1)
	v_and_b32_e32 v0, 0xfc, v0
	v_lshlrev_b32_e32 v6, 4, v0
	ds_load_b128 v[0:3], v64 offset:880
	s_clause 0x1
	global_load_b128 v[7:10], v6, s[10:11]
	global_load_b128 v[240:243], v6, s[10:11] offset:48
	s_waitcnt vmcnt(1) lgkmcnt(0)
	v_mul_f64 v[4:5], v[2:3], v[9:10]
	scratch_store_b128 off, v[7:10], off offset:640 ; 16-byte Folded Spill
	v_fma_f64 v[46:47], v[0:1], v[7:8], -v[4:5]
	v_mul_f64 v[0:1], v[0:1], v[9:10]
	s_delay_alu instid0(VALU_DEP_1)
	v_fma_f64 v[44:45], v[2:3], v[7:8], v[0:1]
	global_load_b128 v[7:10], v6, s[10:11] offset:16
	ds_load_b128 v[0:3], v64 offset:1360
	s_waitcnt vmcnt(0) lgkmcnt(0)
	v_mul_f64 v[4:5], v[2:3], v[9:10]
	scratch_store_b128 off, v[7:10], off offset:656 ; 16-byte Folded Spill
	v_fma_f64 v[54:55], v[0:1], v[7:8], -v[4:5]
	v_mul_f64 v[0:1], v[0:1], v[9:10]
	s_delay_alu instid0(VALU_DEP_1)
	v_fma_f64 v[48:49], v[2:3], v[7:8], v[0:1]
	global_load_b128 v[7:10], v6, s[10:11] offset:32
	ds_load_b128 v[0:3], v64 offset:1840
	s_waitcnt vmcnt(0) lgkmcnt(0)
	v_mul_f64 v[4:5], v[2:3], v[9:10]
	scratch_store_b128 off, v[7:10], off offset:672 ; 16-byte Folded Spill
	v_fma_f64 v[52:53], v[0:1], v[7:8], -v[4:5]
	v_mul_f64 v[0:1], v[0:1], v[9:10]
	s_delay_alu instid0(VALU_DEP_1)
	v_fma_f64 v[50:51], v[2:3], v[7:8], v[0:1]
	ds_load_b128 v[0:3], v64 offset:2320
	ds_load_b128 v[8:11], v64
	v_add_f64 v[6:7], v[18:19], v[22:23]
	s_waitcnt lgkmcnt(1)
	v_mul_f64 v[4:5], v[2:3], v[242:243]
	s_waitcnt lgkmcnt(0)
	s_delay_alu instid0(VALU_DEP_2) | instskip(NEXT) | instid1(VALU_DEP_2)
	v_fma_f64 v[6:7], v[6:7], -0.5, v[10:11]
	v_fma_f64 v[56:57], v[0:1], v[240:241], -v[4:5]
	v_mul_f64 v[0:1], v[0:1], v[242:243]
	v_add_f64 v[4:5], v[26:27], -v[22:23]
	s_delay_alu instid0(VALU_DEP_4) | instskip(SKIP_1) | instid1(VALU_DEP_4)
	v_fma_f64 v[74:75], v[98:99], s[18:19], v[6:7]
	v_fma_f64 v[6:7], v[98:99], s[16:17], v[6:7]
	;; [unrolled: 1-line block ×3, first 2 shown]
	v_add_f64 v[0:1], v[12:13], -v[16:17]
	v_add_f64 v[2:3], v[24:25], -v[20:21]
	v_fma_f64 v[74:75], v[100:101], s[14:15], v[74:75]
	v_fma_f64 v[6:7], v[100:101], s[12:13], v[6:7]
	s_delay_alu instid0(VALU_DEP_3) | instskip(SKIP_1) | instid1(VALU_DEP_1)
	v_add_f64 v[0:1], v[0:1], v[2:3]
	v_add_f64 v[2:3], v[14:15], -v[18:19]
	v_add_f64 v[2:3], v[2:3], v[4:5]
	v_add_f64 v[4:5], v[16:17], v[20:21]
	s_delay_alu instid0(VALU_DEP_2) | instskip(NEXT) | instid1(VALU_DEP_2)
	v_fma_f64 v[74:75], v[2:3], s[2:3], v[74:75]
	v_fma_f64 v[4:5], v[4:5], -0.5, v[8:9]
	v_fma_f64 v[6:7], v[2:3], s[2:3], v[6:7]
	v_add_f64 v[2:3], v[14:15], v[26:27]
	s_delay_alu instid0(VALU_DEP_3) | instskip(SKIP_1) | instid1(VALU_DEP_3)
	v_fma_f64 v[72:73], v[28:29], s[16:17], v[4:5]
	v_fma_f64 v[4:5], v[28:29], s[18:19], v[4:5]
	v_fma_f64 v[2:3], v[2:3], -0.5, v[10:11]
	v_add_f64 v[10:11], v[10:11], v[14:15]
	v_add_f64 v[14:15], v[18:19], -v[14:15]
	v_fma_f64 v[72:73], v[30:31], s[12:13], v[72:73]
	v_fma_f64 v[4:5], v[30:31], s[14:15], v[4:5]
	s_delay_alu instid0(VALU_DEP_4) | instskip(NEXT) | instid1(VALU_DEP_3)
	v_add_f64 v[10:11], v[10:11], v[18:19]
	v_fma_f64 v[72:73], v[0:1], s[2:3], v[72:73]
	s_delay_alu instid0(VALU_DEP_3) | instskip(SKIP_1) | instid1(VALU_DEP_4)
	v_fma_f64 v[4:5], v[0:1], s[2:3], v[4:5]
	v_add_f64 v[0:1], v[12:13], v[24:25]
	v_add_f64 v[10:11], v[10:11], v[22:23]
	s_delay_alu instid0(VALU_DEP_2) | instskip(SKIP_2) | instid1(VALU_DEP_4)
	v_fma_f64 v[0:1], v[0:1], -0.5, v[8:9]
	v_add_f64 v[8:9], v[8:9], v[12:13]
	v_add_f64 v[12:13], v[16:17], -v[12:13]
	v_add_f64 v[18:19], v[10:11], v[26:27]
	s_delay_alu instid0(VALU_DEP_4) | instskip(NEXT) | instid1(VALU_DEP_4)
	v_fma_f64 v[10:11], v[30:31], s[18:19], v[0:1]
	v_add_f64 v[8:9], v[8:9], v[16:17]
	v_fma_f64 v[0:1], v[30:31], s[16:17], v[0:1]
	s_delay_alu instid0(VALU_DEP_2) | instskip(SKIP_1) | instid1(VALU_DEP_3)
	v_add_f64 v[8:9], v[8:9], v[20:21]
	v_add_f64 v[20:21], v[20:21], -v[24:25]
	v_fma_f64 v[0:1], v[28:29], s[14:15], v[0:1]
	s_delay_alu instid0(VALU_DEP_3)
	v_add_f64 v[16:17], v[8:9], v[24:25]
	v_add_f64 v[8:9], v[22:23], -v[26:27]
	v_fma_f64 v[22:23], v[100:101], s[16:17], v[2:3]
	v_fma_f64 v[2:3], v[100:101], s[18:19], v[2:3]
	v_add_f64 v[20:21], v[12:13], v[20:21]
	v_add_f64 v[100:101], v[38:39], -v[69:70]
	v_add_f64 v[24:25], v[14:15], v[8:9]
	v_fma_f64 v[8:9], v[28:29], s[12:13], v[10:11]
	v_fma_f64 v[10:11], v[98:99], s[14:15], v[22:23]
	;; [unrolled: 1-line block ×3, first 2 shown]
	ds_load_b128 v[28:31], v64 offset:80
	v_add_f64 v[98:99], v[34:35], -v[76:77]
	v_fma_f64 v[12:13], v[20:21], s[2:3], v[8:9]
	v_fma_f64 v[14:15], v[24:25], s[2:3], v[10:11]
	;; [unrolled: 1-line block ×4, first 2 shown]
	v_add_f64 v[0:1], v[32:33], -v[36:37]
	v_add_f64 v[2:3], v[42:43], -v[40:41]
	;; [unrolled: 1-line block ×3, first 2 shown]
	s_delay_alu instid0(VALU_DEP_2) | instskip(SKIP_1) | instid1(VALU_DEP_1)
	v_add_f64 v[0:1], v[0:1], v[2:3]
	v_add_f64 v[2:3], v[34:35], -v[38:39]
	v_add_f64 v[2:3], v[2:3], v[20:21]
	v_add_f64 v[20:21], v[36:37], v[40:41]
	s_waitcnt lgkmcnt(0)
	s_delay_alu instid0(VALU_DEP_1) | instskip(SKIP_1) | instid1(VALU_DEP_1)
	v_fma_f64 v[24:25], v[20:21], -0.5, v[28:29]
	v_add_f64 v[20:21], v[38:39], v[69:70]
	v_fma_f64 v[26:27], v[20:21], -0.5, v[30:31]
	s_delay_alu instid0(VALU_DEP_3) | instskip(SKIP_1) | instid1(VALU_DEP_3)
	v_fma_f64 v[20:21], v[98:99], s[16:17], v[24:25]
	v_fma_f64 v[24:25], v[98:99], s[18:19], v[24:25]
	;; [unrolled: 1-line block ×4, first 2 shown]
	s_delay_alu instid0(VALU_DEP_4) | instskip(NEXT) | instid1(VALU_DEP_4)
	v_fma_f64 v[20:21], v[100:101], s[12:13], v[20:21]
	v_fma_f64 v[24:25], v[100:101], s[14:15], v[24:25]
	s_delay_alu instid0(VALU_DEP_4) | instskip(NEXT) | instid1(VALU_DEP_4)
	v_fma_f64 v[22:23], v[104:105], s[14:15], v[22:23]
	v_fma_f64 v[26:27], v[104:105], s[12:13], v[26:27]
	;; [unrolled: 3-line block ×3, first 2 shown]
	v_add_f64 v[0:1], v[32:33], v[42:43]
	v_fma_f64 v[22:23], v[2:3], s[2:3], v[22:23]
	v_fma_f64 v[26:27], v[2:3], s[2:3], v[26:27]
	v_add_f64 v[2:3], v[34:35], v[76:77]
	s_delay_alu instid0(VALU_DEP_4) | instskip(SKIP_2) | instid1(VALU_DEP_4)
	v_fma_f64 v[0:1], v[0:1], -0.5, v[28:29]
	v_add_f64 v[28:29], v[28:29], v[32:33]
	v_add_f64 v[32:33], v[36:37], -v[32:33]
	v_fma_f64 v[2:3], v[2:3], -0.5, v[30:31]
	v_add_f64 v[30:31], v[30:31], v[34:35]
	v_add_f64 v[34:35], v[38:39], -v[34:35]
	v_add_f64 v[28:29], v[28:29], v[36:37]
	v_add_f64 v[36:37], v[40:41], -v[42:43]
	s_delay_alu instid0(VALU_DEP_4) | instskip(SKIP_1) | instid1(VALU_DEP_4)
	v_add_f64 v[30:31], v[30:31], v[38:39]
	v_fma_f64 v[38:39], v[104:105], s[16:17], v[2:3]
	v_add_f64 v[28:29], v[28:29], v[40:41]
	v_fma_f64 v[2:3], v[104:105], s[18:19], v[2:3]
	v_add_f64 v[36:37], v[32:33], v[36:37]
	v_add_f64 v[30:31], v[30:31], v[69:70]
	s_delay_alu instid0(VALU_DEP_4) | instskip(SKIP_2) | instid1(VALU_DEP_4)
	v_add_f64 v[40:41], v[28:29], v[42:43]
	v_add_f64 v[28:29], v[69:70], -v[76:77]
	v_fma_f64 v[2:3], v[102:103], s[12:13], v[2:3]
	v_add_f64 v[42:43], v[30:31], v[76:77]
	v_fma_f64 v[30:31], v[100:101], s[18:19], v[0:1]
	v_fma_f64 v[0:1], v[100:101], s[16:17], v[0:1]
	v_add_f64 v[69:70], v[34:35], v[28:29]
	v_add_f64 v[100:101], v[80:81], -v[94:95]
	v_add_f64 v[76:77], v[88:89], -v[92:93]
	v_fma_f64 v[28:29], v[98:99], s[12:13], v[30:31]
	v_fma_f64 v[0:1], v[98:99], s[14:15], v[0:1]
	;; [unrolled: 1-line block ×3, first 2 shown]
	v_add_f64 v[38:39], v[88:89], v[92:93]
	v_add_f64 v[102:103], v[84:85], -v[90:91]
	v_fma_f64 v[32:33], v[36:37], s[2:3], v[28:29]
	v_fma_f64 v[28:29], v[36:37], s[2:3], v[0:1]
	;; [unrolled: 1-line block ×4, first 2 shown]
	v_add_f64 v[0:1], v[80:81], -v[84:85]
	v_add_f64 v[2:3], v[94:95], -v[90:91]
	;; [unrolled: 1-line block ×3, first 2 shown]
	v_fma_f64 v[38:39], v[38:39], -0.5, v[197:198]
	v_add_f64 v[69:70], v[82:83], -v[96:97]
	s_delay_alu instid0(VALU_DEP_4) | instskip(SKIP_1) | instid1(VALU_DEP_4)
	v_add_f64 v[0:1], v[0:1], v[2:3]
	v_add_f64 v[2:3], v[82:83], -v[88:89]
	v_fma_f64 v[104:105], v[100:101], s[18:19], v[38:39]
	v_fma_f64 v[38:39], v[100:101], s[16:17], v[38:39]
	s_delay_alu instid0(VALU_DEP_3) | instskip(SKIP_1) | instid1(VALU_DEP_4)
	v_add_f64 v[2:3], v[2:3], v[36:37]
	v_add_f64 v[36:37], v[84:85], v[90:91]
	v_fma_f64 v[104:105], v[102:103], s[14:15], v[104:105]
	s_delay_alu instid0(VALU_DEP_4) | instskip(NEXT) | instid1(VALU_DEP_3)
	v_fma_f64 v[38:39], v[102:103], s[12:13], v[38:39]
	v_fma_f64 v[36:37], v[36:37], -0.5, v[195:196]
	s_delay_alu instid0(VALU_DEP_3) | instskip(SKIP_1) | instid1(VALU_DEP_4)
	v_fma_f64 v[210:211], v[2:3], s[2:3], v[104:105]
	v_add_f64 v[104:105], v[197:198], v[82:83]
	v_fma_f64 v[38:39], v[2:3], s[2:3], v[38:39]
	v_add_f64 v[2:3], v[82:83], v[96:97]
	v_add_f64 v[82:83], v[88:89], -v[82:83]
	v_fma_f64 v[98:99], v[69:70], s[16:17], v[36:37]
	v_fma_f64 v[36:37], v[69:70], s[18:19], v[36:37]
	s_delay_alu instid0(VALU_DEP_4) | instskip(NEXT) | instid1(VALU_DEP_3)
	v_fma_f64 v[2:3], v[2:3], -0.5, v[197:198]
	v_fma_f64 v[98:99], v[76:77], s[12:13], v[98:99]
	s_delay_alu instid0(VALU_DEP_3) | instskip(NEXT) | instid1(VALU_DEP_2)
	v_fma_f64 v[36:37], v[76:77], s[14:15], v[36:37]
	v_fma_f64 v[208:209], v[0:1], s[2:3], v[98:99]
	v_add_f64 v[98:99], v[195:196], v[80:81]
	s_delay_alu instid0(VALU_DEP_3) | instskip(SKIP_2) | instid1(VALU_DEP_4)
	v_fma_f64 v[36:37], v[0:1], s[2:3], v[36:37]
	v_add_f64 v[0:1], v[80:81], v[94:95]
	v_add_f64 v[80:81], v[84:85], -v[80:81]
	v_add_f64 v[84:85], v[98:99], v[84:85]
	v_add_f64 v[98:99], v[104:105], v[88:89]
	s_delay_alu instid0(VALU_DEP_4) | instskip(NEXT) | instid1(VALU_DEP_3)
	v_fma_f64 v[0:1], v[0:1], -0.5, v[195:196]
	v_add_f64 v[84:85], v[84:85], v[90:91]
	s_delay_alu instid0(VALU_DEP_3) | instskip(SKIP_1) | instid1(VALU_DEP_3)
	v_add_f64 v[88:89], v[98:99], v[92:93]
	v_add_f64 v[90:91], v[90:91], -v[94:95]
	v_add_f64 v[195:196], v[84:85], v[94:95]
	s_delay_alu instid0(VALU_DEP_3)
	v_add_f64 v[197:198], v[88:89], v[96:97]
	v_add_f64 v[84:85], v[92:93], -v[96:97]
	v_fma_f64 v[88:89], v[76:77], s[18:19], v[0:1]
	v_fma_f64 v[0:1], v[76:77], s[16:17], v[0:1]
	;; [unrolled: 1-line block ×4, first 2 shown]
	v_add_f64 v[80:81], v[80:81], v[90:91]
	v_add_f64 v[90:91], v[188:189], -v[186:187]
	v_add_f64 v[94:95], v[186:187], -v[190:191]
	v_add_f64 v[82:83], v[82:83], v[84:85]
	v_fma_f64 v[84:85], v[69:70], s[12:13], v[88:89]
	v_fma_f64 v[0:1], v[69:70], s[14:15], v[0:1]
	;; [unrolled: 1-line block ×4, first 2 shown]
	v_add_f64 v[76:77], v[182:183], v[184:185]
	v_add_f64 v[88:89], v[180:181], -v[190:191]
	v_fma_f64 v[213:214], v[80:81], s[2:3], v[84:85]
	v_fma_f64 v[217:218], v[80:81], s[2:3], v[0:1]
	v_add_f64 v[0:1], v[180:181], -v[188:189]
	v_fma_f64 v[219:220], v[82:83], s[2:3], v[2:3]
	v_add_f64 v[2:3], v[190:191], -v[186:187]
	;; [unrolled: 2-line block ×3, first 2 shown]
	v_fma_f64 v[76:77], v[76:77], -0.5, v[223:224]
	v_add_f64 v[80:81], v[178:179], -v[192:193]
	v_add_f64 v[82:83], v[182:183], -v[184:185]
	v_add_f64 v[0:1], v[0:1], v[2:3]
	v_add_f64 v[2:3], v[178:179], -v[182:183]
	v_fma_f64 v[92:93], v[88:89], s[18:19], v[76:77]
	v_fma_f64 v[76:77], v[88:89], s[16:17], v[76:77]
	s_delay_alu instid0(VALU_DEP_3) | instskip(SKIP_1) | instid1(VALU_DEP_4)
	v_add_f64 v[2:3], v[2:3], v[69:70]
	v_add_f64 v[69:70], v[188:189], v[186:187]
	v_fma_f64 v[92:93], v[90:91], s[14:15], v[92:93]
	s_delay_alu instid0(VALU_DEP_4) | instskip(NEXT) | instid1(VALU_DEP_3)
	v_fma_f64 v[76:77], v[90:91], s[12:13], v[76:77]
	v_fma_f64 v[69:70], v[69:70], -0.5, v[221:222]
	s_delay_alu instid0(VALU_DEP_3) | instskip(NEXT) | instid1(VALU_DEP_3)
	v_fma_f64 v[227:228], v[2:3], s[2:3], v[92:93]
	v_fma_f64 v[246:247], v[2:3], s[2:3], v[76:77]
	v_add_f64 v[76:77], v[223:224], v[178:179]
	v_add_f64 v[2:3], v[178:179], v[192:193]
	v_add_f64 v[92:93], v[182:183], -v[178:179]
	v_fma_f64 v[84:85], v[80:81], s[16:17], v[69:70]
	v_fma_f64 v[69:70], v[80:81], s[18:19], v[69:70]
	v_add_f64 v[76:77], v[76:77], v[182:183]
	v_fma_f64 v[2:3], v[2:3], -0.5, v[223:224]
	s_delay_alu instid0(VALU_DEP_4) | instskip(NEXT) | instid1(VALU_DEP_4)
	v_fma_f64 v[84:85], v[82:83], s[12:13], v[84:85]
	v_fma_f64 v[69:70], v[82:83], s[14:15], v[69:70]
	s_delay_alu instid0(VALU_DEP_4) | instskip(NEXT) | instid1(VALU_DEP_3)
	v_add_f64 v[76:77], v[76:77], v[184:185]
	v_fma_f64 v[225:226], v[0:1], s[2:3], v[84:85]
	s_delay_alu instid0(VALU_DEP_3) | instskip(SKIP_4) | instid1(VALU_DEP_4)
	v_fma_f64 v[244:245], v[0:1], s[2:3], v[69:70]
	v_add_f64 v[69:70], v[221:222], v[180:181]
	v_add_f64 v[0:1], v[180:181], v[190:191]
	v_add_f64 v[84:85], v[188:189], -v[180:181]
	v_add_f64 v[180:181], v[76:77], v[192:193]
	v_add_f64 v[69:70], v[69:70], v[188:189]
	s_delay_alu instid0(VALU_DEP_4) | instskip(NEXT) | instid1(VALU_DEP_4)
	v_fma_f64 v[0:1], v[0:1], -0.5, v[221:222]
	v_add_f64 v[84:85], v[84:85], v[94:95]
	s_delay_alu instid0(VALU_DEP_3) | instskip(NEXT) | instid1(VALU_DEP_3)
	v_add_f64 v[69:70], v[69:70], v[186:187]
	v_fma_f64 v[76:77], v[82:83], s[18:19], v[0:1]
	v_fma_f64 v[0:1], v[82:83], s[16:17], v[0:1]
	;; [unrolled: 1-line block ×4, first 2 shown]
	v_add_f64 v[90:91], v[154:155], -v[172:173]
	v_add_f64 v[178:179], v[69:70], v[190:191]
	v_add_f64 v[69:70], v[184:185], -v[192:193]
	v_fma_f64 v[0:1], v[80:81], s[14:15], v[0:1]
	v_fma_f64 v[76:77], v[80:81], s[12:13], v[76:77]
	;; [unrolled: 1-line block ×4, first 2 shown]
	ds_load_b128 v[190:193], v64 offset:320
	v_add_f64 v[88:89], v[62:63], -v[174:175]
	v_add_f64 v[82:83], v[65:66], -v[152:153]
	v_add_f64 v[69:70], v[92:93], v[69:70]
	v_fma_f64 v[186:187], v[84:85], s[2:3], v[0:1]
	v_add_f64 v[0:1], v[62:63], -v[154:155]
	v_fma_f64 v[182:183], v[84:85], s[2:3], v[76:77]
	v_add_f64 v[76:77], v[65:66], v[152:153]
	v_fma_f64 v[188:189], v[69:70], s[2:3], v[2:3]
	v_add_f64 v[2:3], v[174:175], -v[172:173]
	v_fma_f64 v[184:185], v[69:70], s[2:3], v[80:81]
	v_add_f64 v[69:70], v[176:177], -v[152:153]
	s_waitcnt lgkmcnt(0)
	v_fma_f64 v[76:77], v[76:77], -0.5, v[192:193]
	v_add_f64 v[80:81], v[60:61], -v[176:177]
	v_add_f64 v[0:1], v[0:1], v[2:3]
	v_add_f64 v[2:3], v[60:61], -v[65:66]
	s_delay_alu instid0(VALU_DEP_4) | instskip(SKIP_1) | instid1(VALU_DEP_3)
	v_fma_f64 v[92:93], v[88:89], s[18:19], v[76:77]
	v_fma_f64 v[76:77], v[88:89], s[16:17], v[76:77]
	v_add_f64 v[2:3], v[2:3], v[69:70]
	v_add_f64 v[69:70], v[154:155], v[172:173]
	s_delay_alu instid0(VALU_DEP_4) | instskip(NEXT) | instid1(VALU_DEP_4)
	v_fma_f64 v[92:93], v[90:91], s[14:15], v[92:93]
	v_fma_f64 v[76:77], v[90:91], s[12:13], v[76:77]
	s_delay_alu instid0(VALU_DEP_3) | instskip(NEXT) | instid1(VALU_DEP_3)
	v_fma_f64 v[69:70], v[69:70], -0.5, v[190:191]
	v_fma_f64 v[223:224], v[2:3], s[2:3], v[92:93]
	s_delay_alu instid0(VALU_DEP_3) | instskip(SKIP_4) | instid1(VALU_DEP_4)
	v_fma_f64 v[250:251], v[2:3], s[2:3], v[76:77]
	v_add_f64 v[2:3], v[60:61], v[176:177]
	v_add_f64 v[76:77], v[192:193], v[60:61]
	v_fma_f64 v[84:85], v[80:81], s[16:17], v[69:70]
	v_fma_f64 v[69:70], v[80:81], s[18:19], v[69:70]
	v_fma_f64 v[2:3], v[2:3], -0.5, v[192:193]
	s_delay_alu instid0(VALU_DEP_3) | instskip(NEXT) | instid1(VALU_DEP_3)
	v_fma_f64 v[84:85], v[82:83], s[12:13], v[84:85]
	v_fma_f64 v[69:70], v[82:83], s[14:15], v[69:70]
	s_delay_alu instid0(VALU_DEP_2) | instskip(NEXT) | instid1(VALU_DEP_2)
	v_fma_f64 v[221:222], v[0:1], s[2:3], v[84:85]
	v_fma_f64 v[248:249], v[0:1], s[2:3], v[69:70]
	v_add_f64 v[0:1], v[62:63], v[174:175]
	v_add_f64 v[69:70], v[190:191], v[62:63]
	v_add_f64 v[84:85], v[154:155], -v[62:63]
	s_delay_alu instid0(VALU_DEP_3) | instskip(NEXT) | instid1(VALU_DEP_3)
	v_fma_f64 v[0:1], v[0:1], -0.5, v[190:191]
	v_add_f64 v[62:63], v[69:70], v[154:155]
	v_add_f64 v[69:70], v[76:77], v[65:66]
	v_add_f64 v[65:66], v[65:66], -v[60:61]
	v_add_f64 v[76:77], v[152:153], -v[176:177]
	ds_load_b128 v[190:193], v64 offset:400
	s_waitcnt lgkmcnt(0)
	s_waitcnt_vscnt null, 0x0
	s_barrier
	buffer_gl0_inv
	ds_store_b128 v64, v[16:19]
	ds_store_b128 v64, v[40:43] offset:80
	ds_store_b128 v64, v[195:198] offset:800
	ds_store_b128 v64, v[178:181] offset:880
	ds_store_b128 v64, v[72:75] offset:160
	ds_store_b128 v64, v[20:23] offset:240
	ds_store_b128 v64, v[12:15] offset:320
	ds_store_b128 v64, v[32:35] offset:400
	ds_store_b128 v64, v[8:11] offset:480
	ds_store_b128 v64, v[28:31] offset:560
	ds_store_b128 v64, v[4:7] offset:640
	ds_store_b128 v64, v[24:27] offset:720
	ds_store_b128 v64, v[208:211] offset:960
	ds_store_b128 v64, v[225:228] offset:1040
	ds_store_b128 v64, v[213:216] offset:1120
	ds_store_b128 v64, v[182:185] offset:1200
	ds_store_b128 v64, v[217:220] offset:1280
	ds_store_b128 v64, v[186:189] offset:1360
	ds_store_b128 v64, v[36:39] offset:1440
	ds_store_b128 v64, v[244:247] offset:1520
	v_and_b32_e32 v4, 0xff, v71
	v_lshlrev_b32_e32 v15, 5, v79
	s_delay_alu instid0(VALU_DEP_2) | instskip(SKIP_1) | instid1(VALU_DEP_1)
	v_lshl_add_u32 v196, v4, 4, v106
	v_and_b32_e32 v4, 0xff, v194
	v_lshl_add_u32 v198, v4, 4, v106
	v_fma_f64 v[92:93], v[82:83], s[18:19], v[0:1]
	v_add_f64 v[60:61], v[62:63], v[172:173]
	v_add_f64 v[62:63], v[69:70], v[152:153]
	v_add_f64 v[69:70], v[172:173], -v[174:175]
	v_fma_f64 v[0:1], v[82:83], s[16:17], v[0:1]
	v_fma_f64 v[82:83], v[90:91], s[16:17], v[2:3]
	;; [unrolled: 1-line block ×3, first 2 shown]
	v_add_f64 v[65:66], v[65:66], v[76:77]
	v_fma_f64 v[76:77], v[80:81], s[12:13], v[92:93]
	v_add_f64 v[60:61], v[60:61], v[174:175]
	v_add_f64 v[92:93], v[54:55], -v[46:47]
	v_add_f64 v[69:70], v[84:85], v[69:70]
	v_fma_f64 v[0:1], v[80:81], s[14:15], v[0:1]
	v_fma_f64 v[80:81], v[88:89], s[14:15], v[82:83]
	;; [unrolled: 1-line block ×3, first 2 shown]
	v_add_f64 v[84:85], v[46:47], -v[56:57]
	v_add_f64 v[88:89], v[54:55], -v[52:53]
	v_add_f64 v[62:63], v[62:63], v[176:177]
	v_fma_f64 v[152:153], v[69:70], s[2:3], v[76:77]
	v_fma_f64 v[172:173], v[69:70], s[2:3], v[0:1]
	v_add_f64 v[0:1], v[46:47], -v[54:55]
	v_fma_f64 v[174:175], v[65:66], s[2:3], v[2:3]
	v_add_f64 v[2:3], v[56:57], -v[52:53]
	v_fma_f64 v[154:155], v[65:66], s[2:3], v[80:81]
	v_add_f64 v[65:66], v[58:59], -v[50:51]
	v_add_f64 v[69:70], v[48:49], v[50:51]
	v_add_f64 v[76:77], v[44:45], -v[58:59]
	v_add_f64 v[80:81], v[48:49], -v[50:51]
	ds_store_b128 v196, v[60:63] offset:1600
	ds_store_b128 v196, v[221:224] offset:1760
	;; [unrolled: 1-line block ×5, first 2 shown]
	v_add_f64 v[0:1], v[0:1], v[2:3]
	v_add_f64 v[2:3], v[44:45], -v[48:49]
	v_fma_f64 v[69:70], v[69:70], -0.5, v[192:193]
	s_delay_alu instid0(VALU_DEP_2) | instskip(SKIP_1) | instid1(VALU_DEP_3)
	v_add_f64 v[2:3], v[2:3], v[65:66]
	v_add_f64 v[65:66], v[54:55], v[52:53]
	v_fma_f64 v[90:91], v[84:85], s[18:19], v[69:70]
	v_fma_f64 v[69:70], v[84:85], s[16:17], v[69:70]
	s_delay_alu instid0(VALU_DEP_3) | instskip(NEXT) | instid1(VALU_DEP_3)
	v_fma_f64 v[65:66], v[65:66], -0.5, v[190:191]
	v_fma_f64 v[90:91], v[88:89], s[14:15], v[90:91]
	s_delay_alu instid0(VALU_DEP_3) | instskip(NEXT) | instid1(VALU_DEP_3)
	v_fma_f64 v[69:70], v[88:89], s[12:13], v[69:70]
	v_fma_f64 v[82:83], v[76:77], s[16:17], v[65:66]
	v_fma_f64 v[65:66], v[76:77], s[18:19], v[65:66]
	s_delay_alu instid0(VALU_DEP_4)
	v_fma_f64 v[254:255], v[2:3], s[2:3], v[90:91]
	v_add_f64 v[90:91], v[192:193], v[44:45]
	v_fma_f64 v[2:3], v[2:3], s[2:3], v[69:70]
	v_add_f64 v[69:70], v[44:45], v[58:59]
	v_fma_f64 v[82:83], v[80:81], s[12:13], v[82:83]
	v_fma_f64 v[65:66], v[80:81], s[14:15], v[65:66]
	s_delay_alu instid0(VALU_DEP_3) | instskip(NEXT) | instid1(VALU_DEP_3)
	v_fma_f64 v[69:70], v[69:70], -0.5, v[192:193]
	v_fma_f64 v[252:253], v[0:1], s[2:3], v[82:83]
	v_add_f64 v[82:83], v[190:191], v[46:47]
	s_delay_alu instid0(VALU_DEP_4) | instskip(SKIP_1) | instid1(VALU_DEP_3)
	v_fma_f64 v[0:1], v[0:1], s[2:3], v[65:66]
	v_add_f64 v[65:66], v[46:47], v[56:57]
	v_add_f64 v[46:47], v[82:83], v[54:55]
	;; [unrolled: 1-line block ×3, first 2 shown]
	s_delay_alu instid0(VALU_DEP_3) | instskip(SKIP_1) | instid1(VALU_DEP_4)
	v_fma_f64 v[65:66], v[65:66], -0.5, v[190:191]
	v_add_f64 v[48:49], v[48:49], -v[44:45]
	v_add_f64 v[44:45], v[46:47], v[52:53]
	s_delay_alu instid0(VALU_DEP_4)
	v_add_f64 v[46:47], v[54:55], v[50:51]
	v_add_f64 v[52:53], v[52:53], -v[56:57]
	v_add_f64 v[50:51], v[50:51], -v[58:59]
	v_fma_f64 v[54:55], v[80:81], s[18:19], v[65:66]
	v_add_f64 v[44:45], v[44:45], v[56:57]
	v_add_f64 v[46:47], v[46:47], v[58:59]
	v_fma_f64 v[58:59], v[88:89], s[16:17], v[69:70]
	v_fma_f64 v[56:57], v[80:81], s[16:17], v[65:66]
	;; [unrolled: 1-line block ×3, first 2 shown]
	v_add_f64 v[52:53], v[92:93], v[52:53]
	v_add_f64 v[69:70], v[48:49], v[50:51]
	v_fma_f64 v[48:49], v[76:77], s[12:13], v[54:55]
	v_fma_f64 v[50:51], v[84:85], s[14:15], v[58:59]
	;; [unrolled: 1-line block ×4, first 2 shown]
	s_delay_alu instid0(VALU_DEP_4) | instskip(NEXT) | instid1(VALU_DEP_4)
	v_fma_f64 v[48:49], v[52:53], s[2:3], v[48:49]
	v_fma_f64 v[50:51], v[69:70], s[2:3], v[50:51]
	s_delay_alu instid0(VALU_DEP_4) | instskip(NEXT) | instid1(VALU_DEP_4)
	v_fma_f64 v[52:53], v[52:53], s[2:3], v[54:55]
	v_fma_f64 v[54:55], v[69:70], s[2:3], v[56:57]
	ds_store_b128 v198, v[44:47] offset:1600
	ds_store_b128 v198, v[252:255] offset:1760
	ds_store_b128 v198, v[48:51] offset:1920
	ds_store_b128 v198, v[52:55] offset:2080
	ds_store_b128 v198, v[0:3] offset:2240
	s_waitcnt lgkmcnt(0)
	s_barrier
	buffer_gl0_inv
	scratch_load_b32 v197, off, off offset:688 ; 4-byte Folded Reload
	v_lshlrev_b32_e32 v0, 5, v237
	global_load_b128 v[18:21], v15, s[10:11] offset:640
	ds_load_b128 v[1:4], v64 offset:800
	ds_load_b128 v[112:115], v64 offset:560
	;; [unrolled: 1-line block ×4, first 2 shown]
	s_clause 0x1
	global_load_b128 v[7:10], v0, s[10:11] offset:640
	global_load_b128 v[11:14], v0, s[10:11] offset:656
	s_waitcnt vmcnt(2)
	scratch_store_b128 off, v[18:21], off offset:576 ; 16-byte Folded Spill
	s_waitcnt vmcnt(1) lgkmcnt(3)
	v_mul_f64 v[5:6], v[3:4], v[9:10]
	scratch_store_b128 off, v[7:10], off offset:624 ; 16-byte Folded Spill
	s_waitcnt vmcnt(0)
	scratch_store_b128 off, v[11:14], off offset:592 ; 16-byte Folded Spill
	v_fma_f64 v[5:6], v[1:2], v[7:8], -v[5:6]
	v_mul_f64 v[1:2], v[1:2], v[9:10]
	s_delay_alu instid0(VALU_DEP_1) | instskip(SKIP_3) | instid1(VALU_DEP_1)
	v_fma_f64 v[7:8], v[3:4], v[7:8], v[1:2]
	ds_load_b128 v[1:4], v64 offset:1600
	s_waitcnt lgkmcnt(0)
	v_mul_f64 v[9:10], v[3:4], v[13:14]
	v_fma_f64 v[9:10], v[1:2], v[11:12], -v[9:10]
	v_mul_f64 v[1:2], v[1:2], v[13:14]
	s_delay_alu instid0(VALU_DEP_1) | instskip(SKIP_3) | instid1(VALU_DEP_1)
	v_fma_f64 v[11:12], v[3:4], v[11:12], v[1:2]
	ds_load_b128 v[1:4], v64 offset:880
	s_waitcnt lgkmcnt(0)
	v_mul_f64 v[13:14], v[3:4], v[20:21]
	v_fma_f64 v[16:17], v[1:2], v[18:19], -v[13:14]
	v_mul_f64 v[1:2], v[1:2], v[20:21]
	global_load_b128 v[20:23], v15, s[10:11] offset:656
	v_lshlrev_b32_e32 v15, 5, v78
	s_clause 0x1
	global_load_b128 v[26:29], v15, s[10:11] offset:640
	global_load_b128 v[188:191], v15, s[10:11] offset:656
	v_add_nc_u32_e32 v15, 0x1e0, v0
	s_clause 0x1
	global_load_b128 v[192:195], v15, s[10:11] offset:640
	global_load_b128 v[184:187], v15, s[10:11] offset:656
	v_lshlrev_b32_e32 v15, 5, v68
	s_clause 0x1
	global_load_b128 v[180:183], v15, s[10:11] offset:640
	global_load_b128 v[208:211], v15, s[10:11] offset:656
	v_lshlrev_b32_e32 v15, 5, v212
	s_clause 0x1
	global_load_b128 v[216:219], v15, s[10:11] offset:640
	global_load_b128 v[224:227], v15, s[10:11] offset:656
	v_add_nc_u32_e32 v15, 0x3c0, v0
	s_clause 0x1
	global_load_b128 v[176:179], v15, s[10:11] offset:640
	global_load_b128 v[244:247], v15, s[10:11] offset:656
	v_add_nc_u32_e32 v15, 0x460, v0
	v_fma_f64 v[18:19], v[3:4], v[18:19], v[1:2]
	ds_load_b128 v[1:4], v64 offset:1680
	s_clause 0x1
	global_load_b128 v[248:251], v15, s[10:11] offset:640
	global_load_b128 v[172:175], v15, s[10:11] offset:656
	v_lshlrev_b32_e32 v15, 5, v197
	s_clause 0x1
	global_load_b128 v[152:155], v15, s[10:11] offset:640
	global_load_b128 v[252:255], v15, s[10:11] offset:656
	s_waitcnt vmcnt(14) lgkmcnt(0)
	v_mul_f64 v[13:14], v[3:4], v[22:23]
	scratch_store_b128 off, v[20:23], off offset:560 ; 16-byte Folded Spill
	s_waitcnt vmcnt(13)
	scratch_store_b128 off, v[26:29], off offset:608 ; 16-byte Folded Spill
	v_fma_f64 v[24:25], v[1:2], v[20:21], -v[13:14]
	v_mul_f64 v[1:2], v[1:2], v[22:23]
	v_add_f64 v[22:23], v[7:8], v[11:12]
	s_delay_alu instid0(VALU_DEP_2) | instskip(SKIP_3) | instid1(VALU_DEP_1)
	v_fma_f64 v[20:21], v[3:4], v[20:21], v[1:2]
	ds_load_b128 v[1:4], v64 offset:960
	s_waitcnt lgkmcnt(0)
	v_mul_f64 v[13:14], v[3:4], v[28:29]
	v_fma_f64 v[32:33], v[1:2], v[26:27], -v[13:14]
	v_mul_f64 v[1:2], v[1:2], v[28:29]
	s_delay_alu instid0(VALU_DEP_1) | instskip(SKIP_3) | instid1(VALU_DEP_1)
	v_fma_f64 v[34:35], v[3:4], v[26:27], v[1:2]
	ds_load_b128 v[1:4], v64 offset:1760
	s_waitcnt vmcnt(12) lgkmcnt(0)
	v_mul_f64 v[13:14], v[3:4], v[190:191]
	v_fma_f64 v[36:37], v[1:2], v[188:189], -v[13:14]
	v_mul_f64 v[1:2], v[1:2], v[190:191]
	s_delay_alu instid0(VALU_DEP_1) | instskip(SKIP_3) | instid1(VALU_DEP_1)
	v_fma_f64 v[38:39], v[3:4], v[188:189], v[1:2]
	ds_load_b128 v[1:4], v64 offset:1040
	s_waitcnt vmcnt(11) lgkmcnt(0)
	;; [unrolled: 7-line block ×13, first 2 shown]
	v_mul_f64 v[13:14], v[3:4], v[254:255]
	v_fma_f64 v[136:137], v[1:2], v[252:253], -v[13:14]
	v_mul_f64 v[1:2], v[1:2], v[254:255]
	s_delay_alu instid0(VALU_DEP_1)
	v_fma_f64 v[138:139], v[3:4], v[252:253], v[1:2]
	v_add_nc_u32_e32 v4, 0x5a0, v0
	ds_load_b128 v[0:3], v64 offset:1520
	s_clause 0x1
	global_load_b128 v[220:223], v4, s[10:11] offset:640
	global_load_b128 v[212:215], v4, s[10:11] offset:656
	s_mov_b32 s11, 0xbfebb67a
	s_mov_b32 s10, s22
	s_waitcnt vmcnt(1) lgkmcnt(0)
	v_mul_f64 v[13:14], v[2:3], v[222:223]
	s_delay_alu instid0(VALU_DEP_1) | instskip(SKIP_1) | instid1(VALU_DEP_1)
	v_fma_f64 v[140:141], v[0:1], v[220:221], -v[13:14]
	v_mul_f64 v[0:1], v[0:1], v[222:223]
	v_fma_f64 v[142:143], v[2:3], v[220:221], v[0:1]
	ds_load_b128 v[0:3], v64 offset:2320
	s_waitcnt vmcnt(0) lgkmcnt(0)
	v_mul_f64 v[13:14], v[2:3], v[214:215]
	s_delay_alu instid0(VALU_DEP_1) | instskip(SKIP_2) | instid1(VALU_DEP_2)
	v_fma_f64 v[144:145], v[0:1], v[212:213], -v[13:14]
	v_mul_f64 v[0:1], v[0:1], v[214:215]
	v_add_f64 v[13:14], v[5:6], v[9:10]
	v_fma_f64 v[146:147], v[2:3], v[212:213], v[0:1]
	ds_load_b128 v[0:3], v64
	s_waitcnt lgkmcnt(0)
	v_fma_f64 v[13:14], v[13:14], -0.5, v[0:1]
	v_fma_f64 v[22:23], v[22:23], -0.5, v[2:3]
	v_add_f64 v[2:3], v[2:3], v[7:8]
	v_add_f64 v[0:1], v[0:1], v[5:6]
	v_add_f64 v[7:8], v[7:8], -v[11:12]
	s_delay_alu instid0(VALU_DEP_3) | instskip(NEXT) | instid1(VALU_DEP_3)
	v_add_f64 v[30:31], v[2:3], v[11:12]
	v_add_f64 v[28:29], v[0:1], v[9:10]
	v_add_f64 v[0:1], v[5:6], -v[9:10]
	s_delay_alu instid0(VALU_DEP_4)
	v_fma_f64 v[120:121], v[7:8], s[22:23], v[13:14]
	v_fma_f64 v[124:125], v[7:8], s[10:11], v[13:14]
	ds_load_b128 v[12:15], v64 offset:80
	v_add_f64 v[2:3], v[18:19], v[20:21]
	v_add_f64 v[8:9], v[18:19], -v[20:21]
	s_waitcnt lgkmcnt(0)
	v_add_f64 v[4:5], v[14:15], v[18:19]
	v_add_f64 v[6:7], v[12:13], v[16:17]
	v_fma_f64 v[122:123], v[0:1], s[10:11], v[22:23]
	v_fma_f64 v[126:127], v[0:1], s[22:23], v[22:23]
	v_add_f64 v[0:1], v[16:17], v[24:25]
	v_fma_f64 v[2:3], v[2:3], -0.5, v[14:15]
	v_add_f64 v[22:23], v[4:5], v[20:21]
	v_add_f64 v[4:5], v[16:17], -v[24:25]
	v_add_f64 v[20:21], v[6:7], v[24:25]
	ds_load_b128 v[24:27], v64 offset:160
	v_fma_f64 v[0:1], v[0:1], -0.5, v[12:13]
	s_waitcnt lgkmcnt(0)
	v_add_f64 v[6:7], v[24:25], v[32:33]
	v_fma_f64 v[62:63], v[4:5], s[10:11], v[2:3]
	v_fma_f64 v[84:85], v[4:5], s[22:23], v[2:3]
	v_add_f64 v[2:3], v[34:35], v[38:39]
	v_add_f64 v[4:5], v[26:27], v[34:35]
	v_fma_f64 v[60:61], v[8:9], s[22:23], v[0:1]
	v_fma_f64 v[82:83], v[8:9], s[10:11], v[0:1]
	v_add_f64 v[0:1], v[32:33], v[36:37]
	v_add_f64 v[8:9], v[34:35], -v[38:39]
	v_fma_f64 v[2:3], v[2:3], -0.5, v[26:27]
	v_add_f64 v[26:27], v[4:5], v[38:39]
	v_add_f64 v[4:5], v[32:33], -v[36:37]
	v_fma_f64 v[0:1], v[0:1], -0.5, v[24:25]
	v_add_f64 v[24:25], v[6:7], v[36:37]
	ds_load_b128 v[36:39], v64 offset:240
	s_waitcnt lgkmcnt(0)
	v_add_f64 v[6:7], v[36:37], v[40:41]
	v_fma_f64 v[34:35], v[4:5], s[10:11], v[2:3]
	v_fma_f64 v[58:59], v[4:5], s[22:23], v[2:3]
	v_add_f64 v[2:3], v[42:43], v[46:47]
	v_add_f64 v[4:5], v[38:39], v[42:43]
	v_fma_f64 v[32:33], v[8:9], s[22:23], v[0:1]
	v_fma_f64 v[56:57], v[8:9], s[10:11], v[0:1]
	v_add_f64 v[0:1], v[40:41], v[44:45]
	v_add_f64 v[8:9], v[42:43], -v[46:47]
	v_fma_f64 v[2:3], v[2:3], -0.5, v[38:39]
	v_add_f64 v[38:39], v[4:5], v[46:47]
	v_add_f64 v[4:5], v[40:41], -v[44:45]
	v_fma_f64 v[0:1], v[0:1], -0.5, v[36:37]
	v_add_f64 v[36:37], v[6:7], v[44:45]
	v_add_f64 v[6:7], v[48:49], v[52:53]
	s_delay_alu instid0(VALU_DEP_4)
	v_fma_f64 v[42:43], v[4:5], s[10:11], v[2:3]
	v_fma_f64 v[46:47], v[4:5], s[22:23], v[2:3]
	v_add_f64 v[2:3], v[54:55], v[68:69]
	v_add_f64 v[4:5], v[50:51], v[54:55]
	v_fma_f64 v[40:41], v[8:9], s[22:23], v[0:1]
	v_fma_f64 v[44:45], v[8:9], s[10:11], v[0:1]
	v_add_f64 v[0:1], v[52:53], v[65:66]
	v_add_f64 v[8:9], v[54:55], -v[68:69]
	v_fma_f64 v[2:3], v[2:3], -0.5, v[50:51]
	v_add_f64 v[50:51], v[4:5], v[68:69]
	v_add_f64 v[4:5], v[52:53], -v[65:66]
	v_fma_f64 v[0:1], v[0:1], -0.5, v[48:49]
	v_add_f64 v[48:49], v[6:7], v[65:66]
	v_add_f64 v[6:7], v[76:77], v[80:81]
	v_add_f64 v[65:66], v[142:143], -v[146:147]
	v_fma_f64 v[54:55], v[4:5], s[10:11], v[2:3]
	v_fma_f64 v[74:75], v[4:5], s[22:23], v[2:3]
	v_add_f64 v[4:5], v[70:71], v[78:79]
	v_fma_f64 v[52:53], v[8:9], s[22:23], v[0:1]
	v_fma_f64 v[72:73], v[8:9], s[10:11], v[0:1]
	ds_load_b128 v[0:3], v64 offset:400
	v_add_f64 v[8:9], v[76:77], -v[80:81]
	s_waitcnt lgkmcnt(0)
	v_fma_f64 v[6:7], v[6:7], -0.5, v[2:3]
	v_add_f64 v[2:3], v[2:3], v[76:77]
	v_add_f64 v[76:77], v[140:141], -v[144:145]
	v_fma_f64 v[4:5], v[4:5], -0.5, v[0:1]
	v_add_f64 v[0:1], v[0:1], v[70:71]
	s_delay_alu instid0(VALU_DEP_4) | instskip(SKIP_1) | instid1(VALU_DEP_4)
	v_add_f64 v[18:19], v[2:3], v[80:81]
	v_add_f64 v[2:3], v[90:91], v[106:107]
	v_fma_f64 v[92:93], v[8:9], s[22:23], v[4:5]
	s_delay_alu instid0(VALU_DEP_4)
	v_add_f64 v[16:17], v[0:1], v[78:79]
	v_add_f64 v[0:1], v[70:71], -v[78:79]
	v_fma_f64 v[96:97], v[8:9], s[10:11], v[4:5]
	v_add_f64 v[4:5], v[102:103], v[90:91]
	v_add_f64 v[8:9], v[90:91], -v[106:107]
	ds_load_b128 v[78:81], v64 offset:640
	v_fma_f64 v[2:3], v[2:3], -0.5, v[102:103]
	v_fma_f64 v[94:95], v[0:1], s[10:11], v[6:7]
	v_fma_f64 v[98:99], v[0:1], s[22:23], v[6:7]
	v_add_f64 v[0:1], v[88:89], v[104:105]
	v_add_f64 v[102:103], v[4:5], v[106:107]
	v_add_f64 v[4:5], v[88:89], -v[104:105]
	v_add_f64 v[6:7], v[100:101], v[88:89]
	s_delay_alu instid0(VALU_DEP_4) | instskip(NEXT) | instid1(VALU_DEP_3)
	v_fma_f64 v[0:1], v[0:1], -0.5, v[100:101]
	v_fma_f64 v[106:107], v[4:5], s[10:11], v[2:3]
	v_fma_f64 v[110:111], v[4:5], s[22:23], v[2:3]
	v_add_f64 v[2:3], v[118:119], v[130:131]
	v_add_f64 v[4:5], v[114:115], v[118:119]
	;; [unrolled: 1-line block ×4, first 2 shown]
	v_fma_f64 v[104:105], v[8:9], s[22:23], v[0:1]
	v_fma_f64 v[108:109], v[8:9], s[10:11], v[0:1]
	v_add_f64 v[0:1], v[116:117], v[128:129]
	v_add_f64 v[8:9], v[118:119], -v[130:131]
	v_fma_f64 v[2:3], v[2:3], -0.5, v[114:115]
	v_add_f64 v[114:115], v[4:5], v[130:131]
	v_add_f64 v[4:5], v[116:117], -v[128:129]
	v_fma_f64 v[0:1], v[0:1], -0.5, v[112:113]
	v_add_f64 v[112:113], v[6:7], v[128:129]
	s_waitcnt lgkmcnt(0)
	v_add_f64 v[6:7], v[78:79], v[132:133]
	s_delay_alu instid0(VALU_DEP_4)
	v_fma_f64 v[118:119], v[4:5], s[10:11], v[2:3]
	v_fma_f64 v[70:71], v[4:5], s[22:23], v[2:3]
	v_add_f64 v[2:3], v[134:135], v[138:139]
	v_add_f64 v[4:5], v[80:81], v[134:135]
	v_fma_f64 v[116:117], v[8:9], s[22:23], v[0:1]
	v_fma_f64 v[68:69], v[8:9], s[10:11], v[0:1]
	v_add_f64 v[0:1], v[132:133], v[136:137]
	v_add_f64 v[8:9], v[134:135], -v[138:139]
	v_fma_f64 v[2:3], v[2:3], -0.5, v[80:81]
	v_add_f64 v[80:81], v[4:5], v[138:139]
	v_add_f64 v[4:5], v[132:133], -v[136:137]
	v_fma_f64 v[0:1], v[0:1], -0.5, v[78:79]
	v_add_f64 v[78:79], v[6:7], v[136:137]
	s_delay_alu instid0(VALU_DEP_3)
	v_fma_f64 v[90:91], v[4:5], s[10:11], v[2:3]
	v_fma_f64 v[14:15], v[4:5], s[22:23], v[2:3]
	v_add_f64 v[4:5], v[140:141], v[144:145]
	v_fma_f64 v[88:89], v[8:9], s[22:23], v[0:1]
	v_fma_f64 v[12:13], v[8:9], s[10:11], v[0:1]
	ds_load_b128 v[0:3], v64 offset:720
	s_waitcnt lgkmcnt(0)
	v_fma_f64 v[8:9], v[4:5], -0.5, v[0:1]
	v_add_f64 v[4:5], v[142:143], v[146:147]
	v_add_f64 v[0:1], v[0:1], v[140:141]
	s_delay_alu instid0(VALU_DEP_2) | instskip(SKIP_1) | instid1(VALU_DEP_3)
	v_fma_f64 v[10:11], v[4:5], -0.5, v[2:3]
	v_add_f64 v[2:3], v[2:3], v[142:143]
	v_add_f64 v[0:1], v[0:1], v[144:145]
	v_fma_f64 v[4:5], v[65:66], s[22:23], v[8:9]
	v_fma_f64 v[8:9], v[65:66], s[10:11], v[8:9]
	;; [unrolled: 1-line block ×3, first 2 shown]
	v_add_f64 v[2:3], v[2:3], v[146:147]
	v_fma_f64 v[10:11], v[76:77], s[22:23], v[10:11]
	ds_store_b128 v64, v[28:31]
	ds_store_b128 v64, v[20:23] offset:80
	ds_store_b128 v64, v[24:27] offset:160
	;; [unrolled: 1-line block ×29, first 2 shown]
	s_waitcnt lgkmcnt(0)
	s_waitcnt_vscnt null, 0x0
	s_barrier
	buffer_gl0_inv
	s_clause 0x1
	global_load_b128 v[4:7], v67, s[8:9] offset:2400
	global_load_b128 v[78:81], v67, s[20:21] offset:560
	ds_load_b128 v[0:3], v64
	ds_load_b128 v[68:71], v64 offset:80
	ds_load_b128 v[14:17], v64 offset:480
	;; [unrolled: 1-line block ×17, first 2 shown]
	global_load_b128 v[88:91], v67, s[20:21] offset:800
	s_mul_i32 s8, s5, 0xfffff7e0
	s_delay_alu instid0(SALU_CYCLE_1) | instskip(SKIP_3) | instid1(VALU_DEP_2)
	s_sub_i32 s8, s8, s4
	s_waitcnt vmcnt(2) lgkmcnt(17)
	v_mul_f64 v[8:9], v[2:3], v[6:7]
	v_mul_f64 v[6:7], v[0:1], v[6:7]
	v_fma_f64 v[144:145], v[0:1], v[4:5], -v[8:9]
	s_delay_alu instid0(VALU_DEP_2)
	v_fma_f64 v[146:147], v[2:3], v[4:5], v[6:7]
	global_load_b128 v[4:7], v67, s[20:21] offset:240
	ds_load_b128 v[8:11], v64 offset:240
	s_waitcnt vmcnt(0) lgkmcnt(0)
	v_mul_f64 v[2:3], v[8:9], v[6:7]
	v_mul_f64 v[0:1], v[10:11], v[6:7]
	s_delay_alu instid0(VALU_DEP_2)
	v_fma_f64 v[150:151], v[10:11], v[4:5], v[2:3]
	global_load_b128 v[10:13], v67, s[20:21] offset:480
	v_fma_f64 v[148:149], v[8:9], v[4:5], -v[0:1]
	s_waitcnt vmcnt(0)
	v_mul_f64 v[2:3], v[14:15], v[12:13]
	v_mul_f64 v[0:1], v[16:17], v[12:13]
	s_delay_alu instid0(VALU_DEP_2)
	v_fma_f64 v[138:139], v[16:17], v[10:11], v[2:3]
	global_load_b128 v[16:19], v67, s[20:21] offset:720
	v_fma_f64 v[136:137], v[14:15], v[10:11], -v[0:1]
	global_load_b128 v[8:11], v67, s[20:21] offset:400
	s_waitcnt vmcnt(1)
	v_mul_f64 v[2:3], v[20:21], v[18:19]
	v_mul_f64 v[0:1], v[22:23], v[18:19]
	s_delay_alu instid0(VALU_DEP_2)
	v_fma_f64 v[142:143], v[22:23], v[16:17], v[2:3]
	global_load_b128 v[22:25], v67, s[20:21] offset:960
	v_fma_f64 v[140:141], v[20:21], v[16:17], -v[0:1]
	s_waitcnt vmcnt(0)
	v_mul_f64 v[2:3], v[26:27], v[24:25]
	v_mul_f64 v[0:1], v[28:29], v[24:25]
	s_delay_alu instid0(VALU_DEP_2)
	v_fma_f64 v[130:131], v[28:29], v[22:23], v[2:3]
	global_load_b128 v[28:31], v67, s[20:21] offset:1200
	v_fma_f64 v[128:129], v[26:27], v[22:23], -v[0:1]
	ds_load_b128 v[20:23], v64 offset:1360
	s_waitcnt vmcnt(0)
	v_mul_f64 v[2:3], v[32:33], v[30:31]
	v_mul_f64 v[0:1], v[34:35], v[30:31]
	s_delay_alu instid0(VALU_DEP_2)
	v_fma_f64 v[134:135], v[34:35], v[28:29], v[2:3]
	global_load_b128 v[34:37], v67, s[20:21] offset:1440
	v_fma_f64 v[132:133], v[32:33], v[28:29], -v[0:1]
	s_waitcnt vmcnt(0)
	v_mul_f64 v[0:1], v[40:41], v[36:37]
	v_mul_f64 v[2:3], v[38:39], v[36:37]
	s_delay_alu instid0(VALU_DEP_2) | instskip(NEXT) | instid1(VALU_DEP_2)
	v_fma_f64 v[36:37], v[38:39], v[34:35], -v[0:1]
	v_fma_f64 v[38:39], v[40:41], v[34:35], v[2:3]
	global_load_b128 v[40:43], v67, s[20:21] offset:1680
	s_waitcnt vmcnt(0)
	v_mul_f64 v[0:1], v[46:47], v[42:43]
	v_mul_f64 v[2:3], v[44:45], v[42:43]
	s_delay_alu instid0(VALU_DEP_2) | instskip(NEXT) | instid1(VALU_DEP_2)
	v_fma_f64 v[42:43], v[44:45], v[40:41], -v[0:1]
	v_fma_f64 v[44:45], v[46:47], v[40:41], v[2:3]
	global_load_b128 v[46:49], v67, s[20:21] offset:1920
	s_waitcnt vmcnt(0)
	v_mul_f64 v[0:1], v[52:53], v[48:49]
	v_mul_f64 v[2:3], v[50:51], v[48:49]
	s_delay_alu instid0(VALU_DEP_2) | instskip(NEXT) | instid1(VALU_DEP_2)
	v_fma_f64 v[48:49], v[50:51], v[46:47], -v[0:1]
	v_fma_f64 v[50:51], v[52:53], v[46:47], v[2:3]
	global_load_b128 v[52:55], v67, s[20:21] offset:2160
	s_waitcnt vmcnt(0)
	v_mul_f64 v[0:1], v[58:59], v[54:55]
	v_mul_f64 v[2:3], v[56:57], v[54:55]
	s_delay_alu instid0(VALU_DEP_2) | instskip(NEXT) | instid1(VALU_DEP_2)
	v_fma_f64 v[54:55], v[56:57], v[52:53], -v[0:1]
	v_fma_f64 v[56:57], v[58:59], v[52:53], v[2:3]
	global_load_b128 v[58:61], v67, s[20:21] offset:80
	s_waitcnt vmcnt(0)
	v_mul_f64 v[0:1], v[70:71], v[60:61]
	v_mul_f64 v[2:3], v[68:69], v[60:61]
	s_delay_alu instid0(VALU_DEP_2) | instskip(NEXT) | instid1(VALU_DEP_2)
	v_fma_f64 v[60:61], v[68:69], v[58:59], -v[0:1]
	v_fma_f64 v[62:63], v[70:71], v[58:59], v[2:3]
	global_load_b128 v[68:71], v67, s[20:21] offset:320
	s_waitcnt vmcnt(0)
	v_mul_f64 v[0:1], v[74:75], v[70:71]
	v_mul_f64 v[2:3], v[72:73], v[70:71]
	s_delay_alu instid0(VALU_DEP_2) | instskip(NEXT) | instid1(VALU_DEP_2)
	v_fma_f64 v[70:71], v[72:73], v[68:69], -v[0:1]
	v_fma_f64 v[72:73], v[74:75], v[68:69], v[2:3]
	v_mul_f64 v[0:1], v[84:85], v[80:81]
	v_mul_f64 v[2:3], v[82:83], v[80:81]
	ds_load_b128 v[74:77], v64 offset:880
	v_fma_f64 v[80:81], v[82:83], v[78:79], -v[0:1]
	v_fma_f64 v[82:83], v[84:85], v[78:79], v[2:3]
	v_mul_f64 v[0:1], v[94:95], v[90:91]
	v_mul_f64 v[2:3], v[92:93], v[90:91]
	s_delay_alu instid0(VALU_DEP_2) | instskip(NEXT) | instid1(VALU_DEP_2)
	v_fma_f64 v[90:91], v[92:93], v[88:89], -v[0:1]
	v_fma_f64 v[92:93], v[94:95], v[88:89], v[2:3]
	global_load_b128 v[94:97], v67, s[20:21] offset:1040
	s_waitcnt vmcnt(0)
	v_mul_f64 v[0:1], v[100:101], v[96:97]
	v_mul_f64 v[2:3], v[98:99], v[96:97]
	s_delay_alu instid0(VALU_DEP_2) | instskip(NEXT) | instid1(VALU_DEP_2)
	v_fma_f64 v[96:97], v[98:99], v[94:95], -v[0:1]
	v_fma_f64 v[98:99], v[100:101], v[94:95], v[2:3]
	global_load_b128 v[100:103], v67, s[20:21] offset:1280
	s_waitcnt vmcnt(0)
	v_mul_f64 v[0:1], v[106:107], v[102:103]
	v_mul_f64 v[2:3], v[104:105], v[102:103]
	s_delay_alu instid0(VALU_DEP_2) | instskip(NEXT) | instid1(VALU_DEP_2)
	v_fma_f64 v[102:103], v[104:105], v[100:101], -v[0:1]
	v_fma_f64 v[104:105], v[106:107], v[100:101], v[2:3]
	global_load_b128 v[106:109], v67, s[20:21] offset:1520
	s_waitcnt vmcnt(0)
	v_mul_f64 v[0:1], v[112:113], v[108:109]
	v_mul_f64 v[2:3], v[110:111], v[108:109]
	s_delay_alu instid0(VALU_DEP_2) | instskip(NEXT) | instid1(VALU_DEP_2)
	v_fma_f64 v[108:109], v[110:111], v[106:107], -v[0:1]
	v_fma_f64 v[110:111], v[112:113], v[106:107], v[2:3]
	global_load_b128 v[112:115], v67, s[20:21] offset:1760
	s_waitcnt vmcnt(0)
	v_mul_f64 v[0:1], v[118:119], v[114:115]
	v_mul_f64 v[2:3], v[116:117], v[114:115]
	s_delay_alu instid0(VALU_DEP_2) | instskip(NEXT) | instid1(VALU_DEP_2)
	v_fma_f64 v[114:115], v[116:117], v[112:113], -v[0:1]
	v_fma_f64 v[116:117], v[118:119], v[112:113], v[2:3]
	global_load_b128 v[118:121], v67, s[20:21] offset:2000
	s_waitcnt vmcnt(0)
	v_mul_f64 v[0:1], v[124:125], v[120:121]
	v_mul_f64 v[2:3], v[122:123], v[120:121]
	s_delay_alu instid0(VALU_DEP_2) | instskip(NEXT) | instid1(VALU_DEP_2)
	v_fma_f64 v[120:121], v[122:123], v[118:119], -v[0:1]
	v_fma_f64 v[122:123], v[124:125], v[118:119], v[2:3]
	global_load_b128 v[124:127], v67, s[20:21] offset:2240
	ds_load_b128 v[0:3], v64 offset:2240
	s_waitcnt vmcnt(0) lgkmcnt(0)
	v_mul_f64 v[4:5], v[2:3], v[126:127]
	v_mul_f64 v[6:7], v[0:1], v[126:127]
	s_delay_alu instid0(VALU_DEP_2) | instskip(NEXT) | instid1(VALU_DEP_2)
	v_fma_f64 v[28:29], v[0:1], v[124:125], -v[4:5]
	v_fma_f64 v[30:31], v[2:3], v[124:125], v[6:7]
	global_load_b128 v[124:127], v67, s[20:21] offset:160
	ds_load_b128 v[0:3], v64 offset:160
	s_waitcnt vmcnt(0) lgkmcnt(0)
	v_mul_f64 v[4:5], v[2:3], v[126:127]
	v_mul_f64 v[6:7], v[0:1], v[126:127]
	s_delay_alu instid0(VALU_DEP_2) | instskip(NEXT) | instid1(VALU_DEP_2)
	v_fma_f64 v[24:25], v[0:1], v[124:125], -v[4:5]
	v_fma_f64 v[26:27], v[2:3], v[124:125], v[6:7]
	ds_load_b128 v[124:127], v64 offset:400
	s_waitcnt lgkmcnt(0)
	v_mul_f64 v[0:1], v[126:127], v[10:11]
	v_mul_f64 v[2:3], v[124:125], v[10:11]
	s_delay_alu instid0(VALU_DEP_2) | instskip(NEXT) | instid1(VALU_DEP_2)
	v_fma_f64 v[124:125], v[124:125], v[8:9], -v[0:1]
	v_fma_f64 v[126:127], v[126:127], v[8:9], v[2:3]
	global_load_b128 v[8:11], v67, s[20:21] offset:640
	ds_load_b128 v[0:3], v64 offset:640
	s_waitcnt vmcnt(0) lgkmcnt(0)
	v_mul_f64 v[4:5], v[2:3], v[10:11]
	v_mul_f64 v[6:7], v[0:1], v[10:11]
	s_delay_alu instid0(VALU_DEP_2) | instskip(NEXT) | instid1(VALU_DEP_2)
	v_fma_f64 v[16:17], v[0:1], v[8:9], -v[4:5]
	v_fma_f64 v[18:19], v[2:3], v[8:9], v[6:7]
	global_load_b128 v[8:11], v67, s[20:21] offset:880
	s_waitcnt vmcnt(0)
	v_mul_f64 v[0:1], v[76:77], v[10:11]
	v_mul_f64 v[2:3], v[74:75], v[10:11]
	s_delay_alu instid0(VALU_DEP_2) | instskip(NEXT) | instid1(VALU_DEP_2)
	v_fma_f64 v[74:75], v[74:75], v[8:9], -v[0:1]
	v_fma_f64 v[76:77], v[76:77], v[8:9], v[2:3]
	global_load_b128 v[8:11], v67, s[20:21] offset:1120
	ds_load_b128 v[0:3], v64 offset:1120
	s_waitcnt vmcnt(0) lgkmcnt(0)
	v_mul_f64 v[4:5], v[2:3], v[10:11]
	v_mul_f64 v[6:7], v[0:1], v[10:11]
	s_delay_alu instid0(VALU_DEP_2) | instskip(NEXT) | instid1(VALU_DEP_2)
	v_fma_f64 v[12:13], v[0:1], v[8:9], -v[4:5]
	v_fma_f64 v[14:15], v[2:3], v[8:9], v[6:7]
	global_load_b128 v[8:11], v67, s[20:21] offset:1360
	s_waitcnt vmcnt(0)
	v_mul_f64 v[0:1], v[22:23], v[10:11]
	v_mul_f64 v[2:3], v[20:21], v[10:11]
	s_delay_alu instid0(VALU_DEP_2) | instskip(NEXT) | instid1(VALU_DEP_2)
	v_fma_f64 v[20:21], v[20:21], v[8:9], -v[0:1]
	v_fma_f64 v[22:23], v[22:23], v[8:9], v[2:3]
	global_load_b128 v[8:11], v67, s[20:21] offset:1600
	ds_load_b128 v[0:3], v64 offset:1600
	s_waitcnt vmcnt(0) lgkmcnt(0)
	v_mul_f64 v[4:5], v[2:3], v[10:11]
	v_mul_f64 v[6:7], v[0:1], v[10:11]
	s_delay_alu instid0(VALU_DEP_2) | instskip(NEXT) | instid1(VALU_DEP_2)
	v_fma_f64 v[4:5], v[0:1], v[8:9], -v[4:5]
	v_fma_f64 v[6:7], v[2:3], v[8:9], v[6:7]
	global_load_b128 v[8:11], v67, s[20:21] offset:1840
	ds_load_b128 v[0:3], v64 offset:1840
	s_waitcnt vmcnt(0) lgkmcnt(0)
	;; [unrolled: 8-line block ×4, first 2 shown]
	v_mul_f64 v[40:41], v[67:68], v[10:11]
	v_mul_f64 v[10:11], v[65:66], v[10:11]
	s_delay_alu instid0(VALU_DEP_2) | instskip(NEXT) | instid1(VALU_DEP_2)
	v_fma_f64 v[65:66], v[65:66], v[8:9], -v[40:41]
	v_fma_f64 v[67:68], v[67:68], v[8:9], v[10:11]
	ds_store_b128 v64, v[144:147]
	ds_store_b128 v64, v[60:63] offset:80
	ds_store_b128 v64, v[136:139] offset:480
	;; [unrolled: 1-line block ×29, first 2 shown]
	s_waitcnt lgkmcnt(0)
	s_barrier
	buffer_gl0_inv
	ds_load_b128 v[0:3], v64 offset:480
	ds_load_b128 v[4:7], v64
	ds_load_b128 v[8:11], v64 offset:960
	s_waitcnt lgkmcnt(1)
	v_add_f64 v[12:13], v[4:5], v[0:1]
	s_waitcnt lgkmcnt(0)
	v_add_f64 v[24:25], v[0:1], -v[8:9]
	v_add_f64 v[26:27], v[8:9], -v[0:1]
	;; [unrolled: 1-line block ×4, first 2 shown]
	v_add_f64 v[16:17], v[12:13], v[8:9]
	v_add_f64 v[12:13], v[6:7], v[2:3]
	s_delay_alu instid0(VALU_DEP_1)
	v_add_f64 v[18:19], v[12:13], v[10:11]
	ds_load_b128 v[12:15], v64 offset:1440
	s_waitcnt lgkmcnt(0)
	v_add_f64 v[20:21], v[8:9], v[12:13]
	v_add_f64 v[22:23], v[10:11], -v[14:15]
	v_add_f64 v[28:29], v[10:11], v[14:15]
	v_add_f64 v[30:31], v[8:9], -v[12:13]
	ds_load_b128 v[8:11], v64 offset:1920
	s_waitcnt lgkmcnt(0)
	v_add_f64 v[36:37], v[2:3], -v[10:11]
	v_add_f64 v[38:39], v[0:1], v[8:9]
	v_add_f64 v[73:74], v[0:1], -v[8:9]
	v_add_f64 v[40:41], v[2:3], v[10:11]
	v_add_f64 v[0:1], v[16:17], v[12:13]
	;; [unrolled: 1-line block ×3, first 2 shown]
	v_add_f64 v[42:43], v[8:9], -v[12:13]
	v_add_f64 v[56:57], v[12:13], -v[8:9]
	;; [unrolled: 1-line block ×4, first 2 shown]
	v_fma_f64 v[20:21], v[20:21], -0.5, v[4:5]
	v_fma_f64 v[28:29], v[28:29], -0.5, v[6:7]
	;; [unrolled: 1-line block ×4, first 2 shown]
	v_add_f64 v[46:47], v[0:1], v[8:9]
	v_add_f64 v[50:51], v[2:3], v[10:11]
	ds_load_b128 v[0:3], v64 offset:720
	ds_load_b128 v[8:11], v64 offset:240
	;; [unrolled: 1-line block ×3, first 2 shown]
	v_add_f64 v[26:27], v[26:27], v[56:57]
	s_waitcnt lgkmcnt(1)
	v_add_f64 v[16:17], v[8:9], v[0:1]
	s_waitcnt lgkmcnt(0)
	v_add_f64 v[60:61], v[0:1], -v[12:13]
	v_add_f64 v[62:63], v[12:13], -v[0:1]
	;; [unrolled: 1-line block ×4, first 2 shown]
	v_add_f64 v[48:49], v[16:17], v[12:13]
	v_add_f64 v[16:17], v[10:11], v[2:3]
	s_delay_alu instid0(VALU_DEP_1)
	v_add_f64 v[52:53], v[16:17], v[14:15]
	ds_load_b128 v[16:19], v64 offset:1680
	s_waitcnt lgkmcnt(0)
	v_add_f64 v[65:66], v[14:15], v[18:19]
	v_add_f64 v[48:49], v[48:49], v[16:17]
	;; [unrolled: 1-line block ×3, first 2 shown]
	v_add_f64 v[75:76], v[14:15], -v[18:19]
	v_add_f64 v[77:78], v[12:13], -v[16:17]
	ds_load_b128 v[12:15], v64 offset:2160
	v_add_f64 v[52:53], v[52:53], v[18:19]
	s_waitcnt lgkmcnt(0)
	v_add_f64 v[71:72], v[0:1], v[12:13]
	v_add_f64 v[0:1], v[0:1], -v[12:13]
	v_add_f64 v[81:82], v[12:13], -v[16:17]
	;; [unrolled: 1-line block ×4, first 2 shown]
	v_add_f64 v[2:3], v[2:3], v[14:15]
	v_add_f64 v[83:84], v[14:15], -v[18:19]
	v_add_f64 v[18:19], v[18:19], -v[14:15]
	v_fma_f64 v[38:39], v[65:66], -0.5, v[10:11]
	v_add_f64 v[12:13], v[48:49], v[12:13]
	v_fma_f64 v[88:89], v[54:55], -0.5, v[8:9]
	v_add_f64 v[14:15], v[52:53], v[14:15]
	;; [unrolled: 2-line block ×4, first 2 shown]
	v_add_f64 v[24:25], v[67:68], v[83:84]
	v_add_f64 v[18:19], v[69:70], v[18:19]
	;; [unrolled: 1-line block ×3, first 2 shown]
	v_add_f64 v[48:49], v[46:47], -v[12:13]
	v_add_f64 v[12:13], v[32:33], v[44:45]
	v_fma_f64 v[32:33], v[0:1], s[16:17], v[38:39]
	v_fma_f64 v[40:41], v[79:80], s[18:19], v[88:89]
	v_add_f64 v[54:55], v[50:51], v[14:15]
	v_add_f64 v[50:51], v[50:51], -v[14:15]
	v_add_f64 v[14:15], v[60:61], v[81:82]
	v_fma_f64 v[56:57], v[75:76], s[16:17], v[8:9]
	v_fma_f64 v[8:9], v[75:76], s[18:19], v[8:9]
	;; [unrolled: 1-line block ×4, first 2 shown]
	s_delay_alu instid0(VALU_DEP_4) | instskip(NEXT) | instid1(VALU_DEP_4)
	v_fma_f64 v[56:57], v[79:80], s[14:15], v[56:57]
	v_fma_f64 v[8:9], v[79:80], s[12:13], v[8:9]
	s_delay_alu instid0(VALU_DEP_4) | instskip(NEXT) | instid1(VALU_DEP_4)
	v_fma_f64 v[32:33], v[24:25], s[2:3], v[32:33]
	v_fma_f64 v[40:41], v[14:15], s[2:3], v[40:41]
	;; [unrolled: 3-line block ×3, first 2 shown]
	s_delay_alu instid0(VALU_DEP_4) | instskip(NEXT) | instid1(VALU_DEP_1)
	v_mul_f64 v[42:43], v[32:33], s[14:15]
	v_fma_f64 v[44:45], v[40:41], s[24:25], v[42:43]
	v_mul_f64 v[40:41], v[40:41], s[12:13]
	v_fma_f64 v[42:43], v[73:74], s[16:17], v[28:29]
	s_delay_alu instid0(VALU_DEP_2) | instskip(SKIP_1) | instid1(VALU_DEP_3)
	v_fma_f64 v[32:33], v[32:33], s[24:25], v[40:41]
	v_fma_f64 v[40:41], v[36:37], s[18:19], v[20:21]
	;; [unrolled: 1-line block ×3, first 2 shown]
	s_delay_alu instid0(VALU_DEP_2) | instskip(NEXT) | instid1(VALU_DEP_2)
	v_fma_f64 v[40:41], v[22:23], s[14:15], v[40:41]
	v_fma_f64 v[60:61], v[12:13], s[2:3], v[42:43]
	s_delay_alu instid0(VALU_DEP_2) | instskip(NEXT) | instid1(VALU_DEP_2)
	v_fma_f64 v[46:47], v[10:11], s[2:3], v[40:41]
	v_add_f64 v[42:43], v[60:61], v[32:33]
	s_delay_alu instid0(VALU_DEP_2)
	v_add_f64 v[40:41], v[46:47], v[44:45]
	v_add_f64 v[44:45], v[46:47], -v[44:45]
	v_add_f64 v[46:47], v[60:61], -v[32:33]
	v_add_f64 v[32:33], v[34:35], v[58:59]
	v_fma_f64 v[34:35], v[77:78], s[18:19], v[2:3]
	v_fma_f64 v[2:3], v[77:78], s[16:17], v[2:3]
	s_delay_alu instid0(VALU_DEP_2) | instskip(NEXT) | instid1(VALU_DEP_2)
	v_fma_f64 v[34:35], v[0:1], s[12:13], v[34:35]
	v_fma_f64 v[2:3], v[0:1], s[14:15], v[2:3]
	;; [unrolled: 1-line block ×3, first 2 shown]
	s_delay_alu instid0(VALU_DEP_3) | instskip(NEXT) | instid1(VALU_DEP_3)
	v_fma_f64 v[34:35], v[18:19], s[2:3], v[34:35]
	v_fma_f64 v[2:3], v[18:19], s[2:3], v[2:3]
	s_delay_alu instid0(VALU_DEP_3) | instskip(NEXT) | instid1(VALU_DEP_3)
	v_fma_f64 v[0:1], v[77:78], s[14:15], v[0:1]
	v_mul_f64 v[58:59], v[34:35], s[18:19]
	v_mul_f64 v[34:35], v[34:35], s[2:3]
	s_delay_alu instid0(VALU_DEP_4)
	v_mul_f64 v[16:17], v[2:3], s[18:19]
	v_mul_f64 v[2:3], v[2:3], s[26:27]
	v_fma_f64 v[0:1], v[24:25], s[2:3], v[0:1]
	v_fma_f64 v[60:61], v[56:57], s[2:3], v[58:59]
	;; [unrolled: 1-line block ×9, first 2 shown]
	v_mul_f64 v[8:9], v[0:1], s[14:15]
	v_mul_f64 v[0:1], v[0:1], s[28:29]
	v_fma_f64 v[58:59], v[73:74], s[12:13], v[58:59]
	v_fma_f64 v[6:7], v[73:74], s[14:15], v[6:7]
	;; [unrolled: 1-line block ×4, first 2 shown]
	s_delay_alu instid0(VALU_DEP_4) | instskip(NEXT) | instid1(VALU_DEP_4)
	v_fma_f64 v[65:66], v[32:33], s[2:3], v[58:59]
	v_fma_f64 v[6:7], v[32:33], s[2:3], v[6:7]
	s_delay_alu instid0(VALU_DEP_4) | instskip(NEXT) | instid1(VALU_DEP_4)
	v_fma_f64 v[62:63], v[26:27], s[2:3], v[56:57]
	v_fma_f64 v[4:5], v[26:27], s[2:3], v[4:5]
	s_delay_alu instid0(VALU_DEP_4) | instskip(NEXT) | instid1(VALU_DEP_4)
	v_add_f64 v[58:59], v[65:66], v[34:35]
	v_add_f64 v[67:68], v[6:7], v[2:3]
	v_add_f64 v[71:72], v[6:7], -v[2:3]
	v_fma_f64 v[6:7], v[79:80], s[16:17], v[88:89]
	v_add_f64 v[56:57], v[62:63], v[60:61]
	v_add_f64 v[60:61], v[62:63], -v[60:61]
	v_add_f64 v[62:63], v[65:66], -v[34:35]
	v_add_f64 v[65:66], v[4:5], v[16:17]
	v_add_f64 v[69:70], v[4:5], -v[16:17]
	v_fma_f64 v[2:3], v[36:37], s[16:17], v[20:21]
	v_fma_f64 v[4:5], v[73:74], s[18:19], v[28:29]
	;; [unrolled: 1-line block ×3, first 2 shown]
	s_delay_alu instid0(VALU_DEP_3) | instskip(NEXT) | instid1(VALU_DEP_3)
	v_fma_f64 v[2:3], v[22:23], s[12:13], v[2:3]
	v_fma_f64 v[4:5], v[30:31], s[14:15], v[4:5]
	s_delay_alu instid0(VALU_DEP_3) | instskip(NEXT) | instid1(VALU_DEP_3)
	v_fma_f64 v[6:7], v[14:15], s[2:3], v[6:7]
	v_fma_f64 v[2:3], v[10:11], s[2:3], v[2:3]
	;; [unrolled: 3-line block ×3, first 2 shown]
	v_fma_f64 v[0:1], v[6:7], s[12:13], v[0:1]
	s_delay_alu instid0(VALU_DEP_2) | instskip(NEXT) | instid1(VALU_DEP_2)
	v_add_f64 v[73:74], v[2:3], v[8:9]
	v_add_f64 v[75:76], v[4:5], v[0:1]
	v_add_f64 v[77:78], v[2:3], -v[8:9]
	v_add_f64 v[79:80], v[4:5], -v[0:1]
	ds_load_b128 v[81:84], v64 offset:80
	ds_load_b128 v[88:91], v64 offset:560
	;; [unrolled: 1-line block ×20, first 2 shown]
	s_waitcnt lgkmcnt(0)
	s_barrier
	buffer_gl0_inv
	ds_store_b128 v86, v[52:55]
	ds_store_b128 v86, v[48:51] offset:80
	ds_store_b128 v86, v[40:43] offset:16
	;; [unrolled: 1-line block ×9, first 2 shown]
	v_add_f64 v[40:41], v[81:82], v[88:89]
	v_add_f64 v[42:43], v[83:84], v[90:91]
	v_add_f64 v[73:74], v[94:95], -v[98:99]
	v_add_f64 v[46:47], v[94:95], v[98:99]
	v_add_f64 v[50:51], v[90:91], -v[94:95]
	v_add_f64 v[58:59], v[94:95], -v[90:91]
	v_add_f64 v[44:45], v[92:93], v[96:97]
	v_add_f64 v[48:49], v[88:89], -v[92:93]
	v_add_f64 v[56:57], v[92:93], -v[88:89]
	;; [unrolled: 1-line block ×4, first 2 shown]
	v_add_f64 v[52:53], v[88:89], v[100:101]
	v_add_f64 v[79:80], v[88:89], -v[100:101]
	v_add_f64 v[54:55], v[90:91], v[102:103]
	v_add_f64 v[60:61], v[100:101], -v[96:97]
	v_add_f64 v[62:63], v[96:97], -v[100:101]
	;; [unrolled: 1-line block ×4, first 2 shown]
	v_add_f64 v[85:86], v[112:113], v[116:117]
	v_add_f64 v[90:91], v[108:109], -v[112:113]
	v_add_f64 v[124:125], v[122:123], -v[118:119]
	;; [unrolled: 1-line block ×3, first 2 shown]
	v_add_f64 v[40:41], v[40:41], v[92:93]
	v_add_f64 v[42:43], v[42:43], v[94:95]
	;; [unrolled: 1-line block ×3, first 2 shown]
	v_add_f64 v[92:93], v[112:113], -v[108:109]
	v_fma_f64 v[128:129], v[46:47], -0.5, v[83:84]
	v_fma_f64 v[126:127], v[44:45], -0.5, v[81:82]
	;; [unrolled: 1-line block ×4, first 2 shown]
	v_add_f64 v[67:68], v[58:59], v[67:68]
	v_fma_f64 v[85:86], v[85:86], -0.5, v[104:105]
	v_add_f64 v[40:41], v[40:41], v[96:97]
	v_add_f64 v[42:43], v[42:43], v[98:99]
	v_add_f64 v[96:97], v[112:113], -v[116:117]
	v_add_f64 v[98:99], v[110:111], -v[114:115]
	v_fma_f64 v[94:95], v[94:95], -0.5, v[106:107]
	v_add_f64 v[69:70], v[40:41], v[100:101]
	v_add_f64 v[40:41], v[104:105], v[108:109]
	;; [unrolled: 1-line block ×4, first 2 shown]
	v_add_f64 v[100:101], v[114:115], -v[110:111]
	v_add_f64 v[102:103], v[110:111], -v[122:123]
	v_add_f64 v[110:111], v[110:111], v[122:123]
	v_add_f64 v[98:99], v[98:99], v[124:125]
	;; [unrolled: 1-line block ×4, first 2 shown]
	v_add_f64 v[108:109], v[108:109], -v[120:121]
	v_add_f64 v[42:43], v[42:43], v[114:115]
	v_add_f64 v[114:115], v[120:121], -v[116:117]
	v_fma_f64 v[106:107], v[110:111], -0.5, v[106:107]
	v_add_f64 v[110:111], v[48:49], v[60:61]
	v_add_f64 v[40:41], v[40:41], v[116:117]
	v_fma_f64 v[104:105], v[112:113], -0.5, v[104:105]
	v_fma_f64 v[48:49], v[108:109], s[16:17], v[94:95]
	v_add_f64 v[112:113], v[50:51], v[65:66]
	v_fma_f64 v[50:51], v[102:103], s[18:19], v[85:86]
	v_add_f64 v[90:91], v[90:91], v[114:115]
	v_add_f64 v[42:43], v[42:43], v[118:119]
	v_add_f64 v[118:119], v[118:119], -v[122:123]
	v_add_f64 v[116:117], v[116:117], -v[120:121]
	v_add_f64 v[120:121], v[40:41], v[120:121]
	v_fma_f64 v[58:59], v[88:89], s[16:17], v[104:105]
	v_fma_f64 v[48:49], v[96:97], s[12:13], v[48:49]
	;; [unrolled: 1-line block ×3, first 2 shown]
	v_add_f64 v[122:123], v[42:43], v[122:123]
	v_add_f64 v[40:41], v[69:70], v[120:121]
	v_add_f64 v[44:45], v[69:70], -v[120:121]
	v_fma_f64 v[48:49], v[98:99], s[2:3], v[48:49]
	v_add_f64 v[69:70], v[92:93], v[116:117]
	v_fma_f64 v[50:51], v[90:91], s[2:3], v[50:51]
	v_fma_f64 v[58:59], v[102:103], s[14:15], v[58:59]
	v_add_f64 v[42:43], v[71:72], v[122:123]
	v_add_f64 v[46:47], v[71:72], -v[122:123]
	v_add_f64 v[71:72], v[100:101], v[118:119]
	v_mul_f64 v[52:53], v[48:49], s[14:15]
	v_fma_f64 v[58:59], v[69:70], s[2:3], v[58:59]
	s_delay_alu instid0(VALU_DEP_2) | instskip(SKIP_1) | instid1(VALU_DEP_1)
	v_fma_f64 v[52:53], v[50:51], s[24:25], v[52:53]
	v_mul_f64 v[50:51], v[50:51], s[12:13]
	v_fma_f64 v[54:55], v[48:49], s[24:25], v[50:51]
	v_fma_f64 v[50:51], v[79:80], s[16:17], v[128:129]
	;; [unrolled: 1-line block ×3, first 2 shown]
	s_delay_alu instid0(VALU_DEP_2) | instskip(NEXT) | instid1(VALU_DEP_2)
	v_fma_f64 v[50:51], v[75:76], s[12:13], v[50:51]
	v_fma_f64 v[48:49], v[73:74], s[14:15], v[48:49]
	s_delay_alu instid0(VALU_DEP_2) | instskip(NEXT) | instid1(VALU_DEP_2)
	v_fma_f64 v[65:66], v[112:113], s[2:3], v[50:51]
	v_fma_f64 v[60:61], v[110:111], s[2:3], v[48:49]
	s_delay_alu instid0(VALU_DEP_2)
	v_add_f64 v[50:51], v[65:66], v[54:55]
	v_add_f64 v[54:55], v[65:66], -v[54:55]
	v_add_f64 v[65:66], v[56:57], v[62:63]
	v_fma_f64 v[56:57], v[96:97], s[18:19], v[106:107]
	v_add_f64 v[48:49], v[60:61], v[52:53]
	v_add_f64 v[52:53], v[60:61], -v[52:53]
	s_delay_alu instid0(VALU_DEP_3) | instskip(NEXT) | instid1(VALU_DEP_1)
	v_fma_f64 v[56:57], v[108:109], s[12:13], v[56:57]
	v_fma_f64 v[56:57], v[71:72], s[2:3], v[56:57]
	s_delay_alu instid0(VALU_DEP_1) | instskip(SKIP_1) | instid1(VALU_DEP_2)
	v_mul_f64 v[60:61], v[56:57], s[18:19]
	v_mul_f64 v[56:57], v[56:57], s[2:3]
	v_fma_f64 v[60:61], v[58:59], s[2:3], v[60:61]
	s_delay_alu instid0(VALU_DEP_2) | instskip(SKIP_3) | instid1(VALU_DEP_3)
	v_fma_f64 v[62:63], v[58:59], s[16:17], v[56:57]
	v_fma_f64 v[56:57], v[73:74], s[16:17], v[81:82]
	;; [unrolled: 1-line block ×5, first 2 shown]
	s_delay_alu instid0(VALU_DEP_3) | instskip(NEXT) | instid1(VALU_DEP_3)
	v_fma_f64 v[81:82], v[77:78], s[12:13], v[81:82]
	v_fma_f64 v[58:59], v[79:80], s[12:13], v[58:59]
	;; [unrolled: 1-line block ×3, first 2 shown]
	s_delay_alu instid0(VALU_DEP_4) | instskip(NEXT) | instid1(VALU_DEP_4)
	v_fma_f64 v[92:93], v[65:66], s[2:3], v[56:57]
	v_fma_f64 v[81:82], v[65:66], s[2:3], v[81:82]
	;; [unrolled: 1-line block ×5, first 2 shown]
	v_add_f64 v[56:57], v[92:93], v[60:61]
	v_add_f64 v[60:61], v[92:93], -v[60:61]
	v_fma_f64 v[65:66], v[79:80], s[14:15], v[65:66]
	v_fma_f64 v[79:80], v[79:80], s[18:19], v[128:129]
	v_add_f64 v[58:59], v[100:101], v[62:63]
	v_add_f64 v[62:63], v[100:101], -v[62:63]
	s_delay_alu instid0(VALU_DEP_4) | instskip(SKIP_3) | instid1(VALU_DEP_3)
	v_fma_f64 v[83:84], v[67:68], s[2:3], v[65:66]
	v_fma_f64 v[65:66], v[96:97], s[16:17], v[106:107]
	;; [unrolled: 1-line block ×5, first 2 shown]
	s_delay_alu instid0(VALU_DEP_3) | instskip(NEXT) | instid1(VALU_DEP_2)
	v_fma_f64 v[67:68], v[102:103], s[12:13], v[67:68]
	v_fma_f64 v[65:66], v[71:72], s[2:3], v[65:66]
	s_delay_alu instid0(VALU_DEP_2) | instskip(NEXT) | instid1(VALU_DEP_2)
	v_fma_f64 v[67:68], v[69:70], s[2:3], v[67:68]
	v_mul_f64 v[69:70], v[65:66], s[18:19]
	v_mul_f64 v[65:66], v[65:66], s[26:27]
	s_delay_alu instid0(VALU_DEP_2) | instskip(NEXT) | instid1(VALU_DEP_2)
	v_fma_f64 v[69:70], v[67:68], s[26:27], v[69:70]
	v_fma_f64 v[71:72], v[67:68], s[16:17], v[65:66]
	s_delay_alu instid0(VALU_DEP_2) | instskip(SKIP_2) | instid1(VALU_DEP_4)
	v_add_f64 v[65:66], v[81:82], v[69:70]
	v_add_f64 v[69:70], v[81:82], -v[69:70]
	v_fma_f64 v[81:82], v[108:109], s[18:19], v[94:95]
	v_add_f64 v[67:68], v[83:84], v[71:72]
	v_add_f64 v[71:72], v[83:84], -v[71:72]
	v_fma_f64 v[83:84], v[102:103], s[16:17], v[85:86]
	s_delay_alu instid0(VALU_DEP_4) | instskip(NEXT) | instid1(VALU_DEP_2)
	v_fma_f64 v[81:82], v[96:97], s[14:15], v[81:82]
	v_fma_f64 v[77:78], v[88:89], s[12:13], v[83:84]
	;; [unrolled: 1-line block ×3, first 2 shown]
	s_delay_alu instid0(VALU_DEP_3) | instskip(SKIP_1) | instid1(VALU_DEP_4)
	v_fma_f64 v[79:80], v[98:99], s[2:3], v[81:82]
	v_fma_f64 v[81:82], v[110:111], s[2:3], v[73:74]
	;; [unrolled: 1-line block ×3, first 2 shown]
	s_delay_alu instid0(VALU_DEP_3) | instskip(SKIP_1) | instid1(VALU_DEP_2)
	v_mul_f64 v[75:76], v[79:80], s[14:15]
	v_mul_f64 v[77:78], v[79:80], s[28:29]
	v_fma_f64 v[79:80], v[73:74], s[28:29], v[75:76]
	s_delay_alu instid0(VALU_DEP_2) | instskip(NEXT) | instid1(VALU_DEP_2)
	v_fma_f64 v[85:86], v[73:74], s[12:13], v[77:78]
	v_add_f64 v[73:74], v[81:82], v[79:80]
	s_delay_alu instid0(VALU_DEP_2)
	v_add_f64 v[75:76], v[83:84], v[85:86]
	v_add_f64 v[77:78], v[81:82], -v[79:80]
	v_add_f64 v[79:80], v[83:84], -v[85:86]
	ds_store_b128 v87, v[40:43]
	ds_store_b128 v87, v[48:51] offset:16
	ds_store_b128 v87, v[56:59] offset:32
	;; [unrolled: 1-line block ×9, first 2 shown]
	v_add_f64 v[40:41], v[36:37], v[4:5]
	v_add_f64 v[42:43], v[38:39], v[6:7]
	;; [unrolled: 1-line block ×3, first 2 shown]
	v_add_f64 v[48:49], v[4:5], -v[0:1]
	v_add_f64 v[50:51], v[0:1], -v[4:5]
	v_add_f64 v[54:55], v[0:1], -v[8:9]
	v_add_f64 v[62:63], v[4:5], -v[12:13]
	v_add_f64 v[46:47], v[2:3], -v[10:11]
	v_add_f64 v[52:53], v[2:3], v[10:11]
	v_add_f64 v[56:57], v[6:7], -v[2:3]
	v_add_f64 v[58:59], v[2:3], -v[6:7]
	;; [unrolled: 1-line block ×4, first 2 shown]
	v_add_f64 v[73:74], v[18:19], v[26:27]
	v_add_f64 v[67:68], v[18:19], -v[26:27]
	v_add_f64 v[69:70], v[20:21], -v[16:17]
	;; [unrolled: 1-line block ×5, first 2 shown]
	v_add_f64 v[79:80], v[20:21], v[28:29]
	v_add_f64 v[81:82], v[20:21], -v[28:29]
	v_add_f64 v[83:84], v[30:31], -v[26:27]
	v_add_f64 v[40:41], v[40:41], v[0:1]
	v_add_f64 v[42:43], v[42:43], v[2:3]
	;; [unrolled: 1-line block ×4, first 2 shown]
	v_fma_f64 v[44:45], v[44:45], -0.5, v[36:37]
	v_add_f64 v[4:5], v[40:41], v[8:9]
	v_add_f64 v[6:7], v[42:43], v[10:11]
	v_add_f64 v[40:41], v[12:13], -v[8:9]
	v_add_f64 v[42:43], v[8:9], -v[12:13]
	;; [unrolled: 1-line block ×3, first 2 shown]
	v_add_f64 v[10:11], v[32:33], v[20:21]
	v_add_f64 v[20:21], v[22:23], v[30:31]
	;; [unrolled: 1-line block ×8, first 2 shown]
	v_add_f64 v[16:17], v[22:23], -v[18:19]
	v_add_f64 v[48:49], v[56:57], v[8:9]
	v_add_f64 v[42:43], v[50:51], v[42:43]
	;; [unrolled: 1-line block ×4, first 2 shown]
	v_add_f64 v[18:19], v[18:19], -v[22:23]
	v_add_f64 v[22:23], v[28:29], -v[24:25]
	v_add_f64 v[10:11], v[10:11], v[24:25]
	v_add_f64 v[24:25], v[24:25], -v[28:29]
	v_add_f64 v[12:13], v[12:13], v[26:27]
	;; [unrolled: 2-line block ×3, first 2 shown]
	v_add_f64 v[69:70], v[16:17], v[83:84]
	v_add_f64 v[10:11], v[10:11], v[28:29]
	v_fma_f64 v[28:29], v[0:1], -0.5, v[36:37]
	v_fma_f64 v[36:37], v[52:53], -0.5, v[38:39]
	;; [unrolled: 1-line block ×4, first 2 shown]
	v_add_f64 v[24:25], v[71:72], v[24:25]
	v_add_f64 v[12:13], v[12:13], v[30:31]
	v_fma_f64 v[30:31], v[2:3], -0.5, v[38:39]
	v_fma_f64 v[38:39], v[73:74], -0.5, v[34:35]
	;; [unrolled: 1-line block ×3, first 2 shown]
	v_add_f64 v[0:1], v[4:5], v[10:11]
	v_add_f64 v[4:5], v[4:5], -v[10:11]
	v_add_f64 v[26:27], v[18:19], v[26:27]
	v_fma_f64 v[10:11], v[77:78], s[18:19], v[52:53]
	v_fma_f64 v[18:19], v[67:68], s[16:17], v[32:33]
	;; [unrolled: 1-line block ×3, first 2 shown]
	v_add_f64 v[2:3], v[6:7], v[12:13]
	v_add_f64 v[6:7], v[6:7], -v[12:13]
	v_fma_f64 v[8:9], v[81:82], s[16:17], v[38:39]
	v_fma_f64 v[10:11], v[67:68], s[14:15], v[10:11]
	;; [unrolled: 1-line block ×4, first 2 shown]
	s_delay_alu instid0(VALU_DEP_4) | instskip(NEXT) | instid1(VALU_DEP_4)
	v_fma_f64 v[8:9], v[75:76], s[12:13], v[8:9]
	v_fma_f64 v[10:11], v[56:57], s[2:3], v[10:11]
	s_delay_alu instid0(VALU_DEP_4) | instskip(NEXT) | instid1(VALU_DEP_4)
	v_fma_f64 v[18:19], v[24:25], s[2:3], v[18:19]
	v_fma_f64 v[24:25], v[24:25], s[2:3], v[32:33]
	s_delay_alu instid0(VALU_DEP_4) | instskip(NEXT) | instid1(VALU_DEP_1)
	v_fma_f64 v[8:9], v[69:70], s[2:3], v[8:9]
	v_mul_f64 v[12:13], v[8:9], s[14:15]
	s_delay_alu instid0(VALU_DEP_1) | instskip(SKIP_1) | instid1(VALU_DEP_1)
	v_fma_f64 v[12:13], v[10:11], s[24:25], v[12:13]
	v_mul_f64 v[10:11], v[10:11], s[12:13]
	v_fma_f64 v[14:15], v[8:9], s[24:25], v[10:11]
	v_fma_f64 v[8:9], v[60:61], s[18:19], v[44:45]
	;; [unrolled: 1-line block ×4, first 2 shown]
	s_delay_alu instid0(VALU_DEP_3) | instskip(NEXT) | instid1(VALU_DEP_3)
	v_fma_f64 v[8:9], v[46:47], s[14:15], v[8:9]
	v_fma_f64 v[10:11], v[54:55], s[12:13], v[10:11]
	s_delay_alu instid0(VALU_DEP_3) | instskip(NEXT) | instid1(VALU_DEP_3)
	v_fma_f64 v[36:37], v[54:55], s[14:15], v[36:37]
	v_fma_f64 v[16:17], v[40:41], s[2:3], v[8:9]
	s_delay_alu instid0(VALU_DEP_3) | instskip(NEXT) | instid1(VALU_DEP_2)
	v_fma_f64 v[20:21], v[48:49], s[2:3], v[10:11]
	v_add_f64 v[8:9], v[16:17], v[12:13]
	v_add_f64 v[12:13], v[16:17], -v[12:13]
	v_fma_f64 v[16:17], v[75:76], s[18:19], v[34:35]
	v_fma_f64 v[34:35], v[75:76], s[16:17], v[34:35]
	v_add_f64 v[10:11], v[20:21], v[14:15]
	v_add_f64 v[14:15], v[20:21], -v[14:15]
	s_delay_alu instid0(VALU_DEP_4) | instskip(NEXT) | instid1(VALU_DEP_4)
	v_fma_f64 v[16:17], v[81:82], s[12:13], v[16:17]
	v_fma_f64 v[34:35], v[81:82], s[14:15], v[34:35]
	s_delay_alu instid0(VALU_DEP_2) | instskip(NEXT) | instid1(VALU_DEP_2)
	v_fma_f64 v[16:17], v[26:27], s[2:3], v[16:17]
	v_fma_f64 v[26:27], v[26:27], s[2:3], v[34:35]
	s_delay_alu instid0(VALU_DEP_2) | instskip(SKIP_1) | instid1(VALU_DEP_3)
	v_mul_f64 v[20:21], v[16:17], s[18:19]
	v_mul_f64 v[16:17], v[16:17], s[2:3]
	;; [unrolled: 1-line block ×4, first 2 shown]
	s_delay_alu instid0(VALU_DEP_4) | instskip(NEXT) | instid1(VALU_DEP_4)
	v_fma_f64 v[20:21], v[18:19], s[2:3], v[20:21]
	v_fma_f64 v[22:23], v[18:19], s[16:17], v[16:17]
	;; [unrolled: 1-line block ×12, first 2 shown]
	s_delay_alu instid0(VALU_DEP_4) | instskip(NEXT) | instid1(VALU_DEP_4)
	v_fma_f64 v[58:59], v[42:43], s[2:3], v[16:17]
	v_fma_f64 v[28:29], v[42:43], s[2:3], v[28:29]
	;; [unrolled: 1-line block ×3, first 2 shown]
	s_delay_alu instid0(VALU_DEP_4)
	v_fma_f64 v[30:31], v[50:51], s[2:3], v[30:31]
	v_fma_f64 v[65:66], v[50:51], s[2:3], v[18:19]
	v_add_f64 v[16:17], v[58:59], v[20:21]
	v_add_f64 v[24:25], v[28:29], v[32:33]
	v_add_f64 v[28:29], v[28:29], -v[32:33]
	v_fma_f64 v[32:33], v[81:82], s[18:19], v[38:39]
	v_add_f64 v[26:27], v[30:31], v[34:35]
	v_add_f64 v[30:31], v[30:31], -v[34:35]
	v_fma_f64 v[34:35], v[60:61], s[16:17], v[44:45]
	v_fma_f64 v[38:39], v[77:78], s[16:17], v[52:53]
	v_add_f64 v[18:19], v[65:66], v[22:23]
	v_add_f64 v[20:21], v[58:59], -v[20:21]
	v_add_f64 v[22:23], v[65:66], -v[22:23]
	v_fma_f64 v[32:33], v[75:76], s[14:15], v[32:33]
	v_fma_f64 v[34:35], v[46:47], s[12:13], v[34:35]
	;; [unrolled: 1-line block ×3, first 2 shown]
	s_delay_alu instid0(VALU_DEP_3) | instskip(NEXT) | instid1(VALU_DEP_3)
	v_fma_f64 v[32:33], v[69:70], s[2:3], v[32:33]
	v_fma_f64 v[40:41], v[40:41], s[2:3], v[34:35]
	s_delay_alu instid0(VALU_DEP_3) | instskip(NEXT) | instid1(VALU_DEP_3)
	v_fma_f64 v[34:35], v[56:57], s[2:3], v[38:39]
	v_mul_f64 v[36:37], v[32:33], s[14:15]
	v_mul_f64 v[32:33], v[32:33], s[28:29]
	s_delay_alu instid0(VALU_DEP_2) | instskip(NEXT) | instid1(VALU_DEP_2)
	v_fma_f64 v[36:37], v[34:35], s[28:29], v[36:37]
	v_fma_f64 v[38:39], v[34:35], s[12:13], v[32:33]
	s_delay_alu instid0(VALU_DEP_2) | instskip(NEXT) | instid1(VALU_DEP_2)
	v_add_f64 v[32:33], v[40:41], v[36:37]
	v_add_f64 v[34:35], v[42:43], v[38:39]
	v_add_f64 v[36:37], v[40:41], -v[36:37]
	v_add_f64 v[38:39], v[42:43], -v[38:39]
	ds_store_b128 v207, v[0:3]
	ds_store_b128 v207, v[8:11] offset:16
	ds_store_b128 v207, v[16:19] offset:32
	;; [unrolled: 1-line block ×9, first 2 shown]
	s_waitcnt lgkmcnt(0)
	s_barrier
	buffer_gl0_inv
	ds_load_b128 v[0:3], v64 offset:480
	scratch_load_b128 v[6:9], off, off offset:496 ; 16-byte Folded Reload
	s_waitcnt lgkmcnt(0)
	v_mul_f64 v[4:5], v[235:236], v[2:3]
	s_delay_alu instid0(VALU_DEP_1) | instskip(SKIP_1) | instid1(VALU_DEP_1)
	v_fma_f64 v[12:13], v[233:234], v[0:1], v[4:5]
	v_mul_f64 v[0:1], v[235:236], v[0:1]
	v_fma_f64 v[14:15], v[233:234], v[2:3], -v[0:1]
	ds_load_b128 v[0:3], v64 offset:640
	s_waitcnt lgkmcnt(0)
	v_mul_f64 v[4:5], v[235:236], v[2:3]
	s_delay_alu instid0(VALU_DEP_1) | instskip(SKIP_1) | instid1(VALU_DEP_1)
	v_fma_f64 v[56:57], v[233:234], v[0:1], v[4:5]
	v_mul_f64 v[0:1], v[235:236], v[0:1]
	v_fma_f64 v[58:59], v[233:234], v[2:3], -v[0:1]
	ds_load_b128 v[0:3], v64 offset:960
	;; [unrolled: 7-line block ×3, first 2 shown]
	s_waitcnt lgkmcnt(0)
	v_mul_f64 v[4:5], v[158:159], v[2:3]
	s_delay_alu instid0(VALU_DEP_1) | instskip(SKIP_1) | instid1(VALU_DEP_2)
	v_fma_f64 v[60:61], v[156:157], v[0:1], v[4:5]
	v_mul_f64 v[0:1], v[158:159], v[0:1]
	v_add_f64 v[99:100], v[60:61], -v[56:57]
	s_delay_alu instid0(VALU_DEP_2) | instskip(SKIP_3) | instid1(VALU_DEP_1)
	v_fma_f64 v[62:63], v[156:157], v[2:3], -v[0:1]
	ds_load_b128 v[0:3], v64 offset:1440
	s_waitcnt lgkmcnt(0)
	v_mul_f64 v[4:5], v[162:163], v[2:3]
	v_fma_f64 v[20:21], v[160:161], v[0:1], v[4:5]
	v_mul_f64 v[0:1], v[162:163], v[0:1]
	s_delay_alu instid0(VALU_DEP_2) | instskip(NEXT) | instid1(VALU_DEP_2)
	v_add_f64 v[97:98], v[16:17], -v[20:21]
	v_fma_f64 v[22:23], v[160:161], v[2:3], -v[0:1]
	ds_load_b128 v[0:3], v64 offset:1600
	s_waitcnt lgkmcnt(0)
	v_mul_f64 v[4:5], v[162:163], v[2:3]
	v_add_f64 v[93:94], v[18:19], -v[22:23]
	s_delay_alu instid0(VALU_DEP_2) | instskip(SKIP_1) | instid1(VALU_DEP_1)
	v_fma_f64 v[67:68], v[160:161], v[0:1], v[4:5]
	v_mul_f64 v[0:1], v[162:163], v[0:1]
	v_fma_f64 v[69:70], v[160:161], v[2:3], -v[0:1]
	ds_load_b128 v[0:3], v64 offset:1920
	s_waitcnt lgkmcnt(0)
	v_mul_f64 v[4:5], v[166:167], v[2:3]
	s_delay_alu instid0(VALU_DEP_1) | instskip(SKIP_1) | instid1(VALU_DEP_2)
	v_fma_f64 v[24:25], v[164:165], v[0:1], v[4:5]
	v_mul_f64 v[0:1], v[166:167], v[0:1]
	v_add_f64 v[95:96], v[12:13], -v[24:25]
	s_delay_alu instid0(VALU_DEP_2) | instskip(SKIP_4) | instid1(VALU_DEP_2)
	v_fma_f64 v[26:27], v[164:165], v[2:3], -v[0:1]
	ds_load_b128 v[0:3], v64 offset:2080
	s_waitcnt lgkmcnt(0)
	v_mul_f64 v[4:5], v[166:167], v[2:3]
	v_add_f64 v[91:92], v[14:15], -v[26:27]
	v_fma_f64 v[71:72], v[164:165], v[0:1], v[4:5]
	v_mul_f64 v[0:1], v[166:167], v[0:1]
	s_delay_alu instid0(VALU_DEP_1) | instskip(SKIP_3) | instid1(VALU_DEP_1)
	v_fma_f64 v[73:74], v[164:165], v[2:3], -v[0:1]
	ds_load_b128 v[0:3], v64 offset:560
	s_waitcnt lgkmcnt(0)
	v_mul_f64 v[4:5], v[170:171], v[2:3]
	v_fma_f64 v[28:29], v[168:169], v[0:1], v[4:5]
	v_mul_f64 v[0:1], v[170:171], v[0:1]
	s_delay_alu instid0(VALU_DEP_1) | instskip(SKIP_3) | instid1(VALU_DEP_1)
	v_fma_f64 v[30:31], v[168:169], v[2:3], -v[0:1]
	ds_load_b128 v[0:3], v64 offset:720
	s_waitcnt lgkmcnt(0)
	v_mul_f64 v[4:5], v[170:171], v[2:3]
	;; [unrolled: 7-line block ×4, first 2 shown]
	v_fma_f64 v[79:80], v[199:200], v[0:1], v[4:5]
	v_mul_f64 v[0:1], v[201:202], v[0:1]
	s_delay_alu instid0(VALU_DEP_2) | instskip(NEXT) | instid1(VALU_DEP_2)
	v_add_f64 v[103:104], v[79:80], -v[148:149]
	v_fma_f64 v[81:82], v[199:200], v[2:3], -v[0:1]
	ds_load_b128 v[0:3], v64 offset:1520
	s_waitcnt lgkmcnt(0)
	v_mul_f64 v[4:5], v[205:206], v[2:3]
	s_delay_alu instid0(VALU_DEP_1) | instskip(SKIP_1) | instid1(VALU_DEP_1)
	v_fma_f64 v[36:37], v[203:204], v[0:1], v[4:5]
	v_mul_f64 v[0:1], v[205:206], v[0:1]
	v_fma_f64 v[38:39], v[203:204], v[2:3], -v[0:1]
	ds_load_b128 v[0:3], v64 offset:1680
	s_waitcnt lgkmcnt(0)
	v_mul_f64 v[4:5], v[205:206], v[2:3]
	s_delay_alu instid0(VALU_DEP_1) | instskip(SKIP_1) | instid1(VALU_DEP_2)
	v_fma_f64 v[83:84], v[203:204], v[0:1], v[4:5]
	v_mul_f64 v[0:1], v[205:206], v[0:1]
	v_add_f64 v[101:102], v[79:80], -v[83:84]
	s_delay_alu instid0(VALU_DEP_2) | instskip(SKIP_3) | instid1(VALU_DEP_1)
	v_fma_f64 v[85:86], v[203:204], v[2:3], -v[0:1]
	ds_load_b128 v[0:3], v64 offset:2000
	s_waitcnt lgkmcnt(0)
	v_mul_f64 v[4:5], v[231:232], v[2:3]
	v_fma_f64 v[40:41], v[229:230], v[0:1], v[4:5]
	v_mul_f64 v[0:1], v[231:232], v[0:1]
	s_delay_alu instid0(VALU_DEP_1) | instskip(SKIP_3) | instid1(VALU_DEP_1)
	v_fma_f64 v[42:43], v[229:230], v[2:3], -v[0:1]
	ds_load_b128 v[0:3], v64 offset:2160
	s_waitcnt lgkmcnt(0)
	v_mul_f64 v[4:5], v[231:232], v[2:3]
	v_fma_f64 v[87:88], v[229:230], v[0:1], v[4:5]
	v_mul_f64 v[0:1], v[231:232], v[0:1]
	s_delay_alu instid0(VALU_DEP_1) | instskip(SKIP_3) | instid1(VALU_DEP_1)
	v_fma_f64 v[89:90], v[229:230], v[2:3], -v[0:1]
	ds_load_b128 v[0:3], v64 offset:800
	s_waitcnt vmcnt(0) lgkmcnt(0)
	v_mul_f64 v[4:5], v[8:9], v[2:3]
	v_fma_f64 v[132:133], v[6:7], v[0:1], v[4:5]
	v_mul_f64 v[0:1], v[8:9], v[0:1]
	s_delay_alu instid0(VALU_DEP_1) | instskip(SKIP_4) | instid1(VALU_DEP_1)
	v_fma_f64 v[130:131], v[6:7], v[2:3], -v[0:1]
	scratch_load_b128 v[6:9], off, off offset:512 ; 16-byte Folded Reload
	ds_load_b128 v[0:3], v64 offset:1280
	s_waitcnt vmcnt(0) lgkmcnt(0)
	v_mul_f64 v[4:5], v[8:9], v[2:3]
	v_fma_f64 v[134:135], v[6:7], v[0:1], v[4:5]
	v_mul_f64 v[0:1], v[8:9], v[0:1]
	s_delay_alu instid0(VALU_DEP_2) | instskip(NEXT) | instid1(VALU_DEP_2)
	v_add_f64 v[111:112], v[132:133], -v[134:135]
	v_fma_f64 v[136:137], v[6:7], v[2:3], -v[0:1]
	scratch_load_b128 v[6:9], off, off offset:528 ; 16-byte Folded Reload
	ds_load_b128 v[0:3], v64 offset:1760
	v_add_f64 v[113:114], v[130:131], -v[136:137]
	s_waitcnt vmcnt(0) lgkmcnt(0)
	v_mul_f64 v[4:5], v[8:9], v[2:3]
	s_delay_alu instid0(VALU_DEP_1) | instskip(SKIP_1) | instid1(VALU_DEP_2)
	v_fma_f64 v[140:141], v[6:7], v[0:1], v[4:5]
	v_mul_f64 v[0:1], v[8:9], v[0:1]
	v_add_f64 v[107:108], v[134:135], -v[140:141]
	s_delay_alu instid0(VALU_DEP_2) | instskip(SKIP_4) | instid1(VALU_DEP_1)
	v_fma_f64 v[138:139], v[6:7], v[2:3], -v[0:1]
	scratch_load_b128 v[6:9], off, off offset:544 ; 16-byte Folded Reload
	ds_load_b128 v[0:3], v64 offset:2240
	s_waitcnt vmcnt(0) lgkmcnt(0)
	v_mul_f64 v[4:5], v[8:9], v[2:3]
	v_fma_f64 v[142:143], v[6:7], v[0:1], v[4:5]
	v_mul_f64 v[0:1], v[8:9], v[0:1]
	s_delay_alu instid0(VALU_DEP_2) | instskip(NEXT) | instid1(VALU_DEP_2)
	v_add_f64 v[109:110], v[132:133], -v[142:143]
	v_fma_f64 v[144:145], v[6:7], v[2:3], -v[0:1]
	scratch_load_b128 v[6:9], off, off offset:640 ; 16-byte Folded Reload
	ds_load_b128 v[0:3], v64 offset:880
	v_add_f64 v[115:116], v[142:143], -v[140:141]
	v_add_f64 v[105:106], v[130:131], -v[144:145]
	v_add_f64 v[117:118], v[144:145], -v[138:139]
	s_waitcnt vmcnt(0) lgkmcnt(0)
	v_mul_f64 v[4:5], v[8:9], v[2:3]
	s_delay_alu instid0(VALU_DEP_1) | instskip(SKIP_1) | instid1(VALU_DEP_1)
	v_fma_f64 v[46:47], v[6:7], v[0:1], v[4:5]
	v_mul_f64 v[0:1], v[8:9], v[0:1]
	v_fma_f64 v[44:45], v[6:7], v[2:3], -v[0:1]
	scratch_load_b128 v[6:9], off, off offset:656 ; 16-byte Folded Reload
	ds_load_b128 v[0:3], v64 offset:1360
	s_waitcnt vmcnt(0) lgkmcnt(0)
	v_mul_f64 v[4:5], v[8:9], v[2:3]
	s_delay_alu instid0(VALU_DEP_1) | instskip(SKIP_1) | instid1(VALU_DEP_1)
	v_fma_f64 v[50:51], v[6:7], v[0:1], v[4:5]
	v_mul_f64 v[0:1], v[8:9], v[0:1]
	v_fma_f64 v[52:53], v[6:7], v[2:3], -v[0:1]
	scratch_load_b128 v[6:9], off, off offset:672 ; 16-byte Folded Reload
	ds_load_b128 v[0:3], v64 offset:1840
	s_waitcnt vmcnt(0) lgkmcnt(0)
	v_mul_f64 v[4:5], v[8:9], v[2:3]
	s_delay_alu instid0(VALU_DEP_1)
	v_fma_f64 v[54:55], v[6:7], v[0:1], v[4:5]
	v_mul_f64 v[0:1], v[8:9], v[0:1]
	ds_load_b128 v[8:11], v64
	v_fma_f64 v[48:49], v[6:7], v[2:3], -v[0:1]
	ds_load_b128 v[0:3], v64 offset:2320
	s_waitcnt lgkmcnt(0)
	v_mul_f64 v[4:5], v[242:243], v[2:3]
	s_delay_alu instid0(VALU_DEP_1) | instskip(SKIP_1) | instid1(VALU_DEP_1)
	v_fma_f64 v[65:66], v[240:241], v[0:1], v[4:5]
	v_mul_f64 v[0:1], v[242:243], v[0:1]
	v_fma_f64 v[128:129], v[240:241], v[2:3], -v[0:1]
	v_add_f64 v[0:1], v[12:13], -v[16:17]
	v_add_f64 v[2:3], v[24:25], -v[20:21]
	s_delay_alu instid0(VALU_DEP_1) | instskip(SKIP_2) | instid1(VALU_DEP_1)
	v_add_f64 v[4:5], v[0:1], v[2:3]
	v_add_f64 v[0:1], v[14:15], -v[18:19]
	v_add_f64 v[2:3], v[26:27], -v[22:23]
	v_add_f64 v[6:7], v[0:1], v[2:3]
	v_add_f64 v[0:1], v[16:17], v[20:21]
	s_delay_alu instid0(VALU_DEP_1) | instskip(SKIP_1) | instid1(VALU_DEP_1)
	v_fma_f64 v[75:76], v[0:1], -0.5, v[8:9]
	v_add_f64 v[0:1], v[18:19], v[22:23]
	v_fma_f64 v[77:78], v[0:1], -0.5, v[10:11]
	s_delay_alu instid0(VALU_DEP_3) | instskip(SKIP_1) | instid1(VALU_DEP_3)
	v_fma_f64 v[0:1], v[91:92], s[18:19], v[75:76]
	v_fma_f64 v[75:76], v[91:92], s[16:17], v[75:76]
	;; [unrolled: 1-line block ×4, first 2 shown]
	s_delay_alu instid0(VALU_DEP_4) | instskip(NEXT) | instid1(VALU_DEP_4)
	v_fma_f64 v[0:1], v[93:94], s[14:15], v[0:1]
	v_fma_f64 v[75:76], v[93:94], s[12:13], v[75:76]
	s_delay_alu instid0(VALU_DEP_4) | instskip(NEXT) | instid1(VALU_DEP_4)
	v_fma_f64 v[2:3], v[97:98], s[12:13], v[2:3]
	v_fma_f64 v[77:78], v[97:98], s[14:15], v[77:78]
	;; [unrolled: 3-line block ×3, first 2 shown]
	v_add_f64 v[75:76], v[12:13], v[24:25]
	v_fma_f64 v[2:3], v[6:7], s[2:3], v[2:3]
	v_fma_f64 v[6:7], v[6:7], s[2:3], v[77:78]
	v_add_f64 v[77:78], v[14:15], v[26:27]
	s_delay_alu instid0(VALU_DEP_4) | instskip(SKIP_2) | instid1(VALU_DEP_4)
	v_fma_f64 v[75:76], v[75:76], -0.5, v[8:9]
	v_add_f64 v[8:9], v[8:9], v[12:13]
	v_add_f64 v[12:13], v[16:17], -v[12:13]
	v_fma_f64 v[77:78], v[77:78], -0.5, v[10:11]
	v_add_f64 v[10:11], v[10:11], v[14:15]
	v_add_f64 v[14:15], v[18:19], -v[14:15]
	v_add_f64 v[8:9], v[8:9], v[16:17]
	v_add_f64 v[16:17], v[20:21], -v[24:25]
	s_delay_alu instid0(VALU_DEP_4) | instskip(SKIP_1) | instid1(VALU_DEP_4)
	v_add_f64 v[10:11], v[10:11], v[18:19]
	v_add_f64 v[18:19], v[22:23], -v[26:27]
	v_add_f64 v[8:9], v[8:9], v[20:21]
	v_fma_f64 v[20:21], v[93:94], s[16:17], v[75:76]
	v_add_f64 v[12:13], v[12:13], v[16:17]
	v_add_f64 v[10:11], v[10:11], v[22:23]
	v_fma_f64 v[22:23], v[93:94], s[18:19], v[75:76]
	v_add_f64 v[8:9], v[8:9], v[24:25]
	v_fma_f64 v[24:25], v[97:98], s[18:19], v[77:78]
	;; [unrolled: 2-line block ×3, first 2 shown]
	v_add_f64 v[75:76], v[30:31], -v[42:43]
	v_add_f64 v[93:94], v[32:33], -v[36:37]
	v_add_f64 v[10:11], v[10:11], v[26:27]
	v_fma_f64 v[26:27], v[97:98], s[16:17], v[77:78]
	v_fma_f64 v[18:19], v[91:92], s[12:13], v[22:23]
	v_fma_f64 v[20:21], v[95:96], s[12:13], v[24:25]
	v_add_f64 v[91:92], v[28:29], -v[40:41]
	v_fma_f64 v[124:125], v[12:13], s[2:3], v[16:17]
	v_add_f64 v[77:78], v[34:35], -v[38:39]
	v_add_f64 v[97:98], v[60:61], -v[67:68]
	v_fma_f64 v[22:23], v[95:96], s[14:15], v[26:27]
	v_fma_f64 v[120:121], v[12:13], s[2:3], v[18:19]
	;; [unrolled: 1-line block ×3, first 2 shown]
	v_add_f64 v[12:13], v[28:29], -v[32:33]
	v_add_f64 v[95:96], v[32:33], -v[28:29]
	v_fma_f64 v[122:123], v[14:15], s[2:3], v[22:23]
	v_add_f64 v[14:15], v[40:41], -v[36:37]
	ds_load_b128 v[20:23], v64 offset:80
	v_add_f64 v[16:17], v[12:13], v[14:15]
	v_add_f64 v[12:13], v[30:31], -v[34:35]
	v_add_f64 v[14:15], v[42:43], -v[38:39]
	s_delay_alu instid0(VALU_DEP_1) | instskip(SKIP_2) | instid1(VALU_DEP_1)
	v_add_f64 v[18:19], v[12:13], v[14:15]
	v_add_f64 v[12:13], v[32:33], v[36:37]
	s_waitcnt lgkmcnt(0)
	v_fma_f64 v[24:25], v[12:13], -0.5, v[20:21]
	v_add_f64 v[12:13], v[34:35], v[38:39]
	s_delay_alu instid0(VALU_DEP_1) | instskip(NEXT) | instid1(VALU_DEP_3)
	v_fma_f64 v[26:27], v[12:13], -0.5, v[22:23]
	v_fma_f64 v[12:13], v[75:76], s[18:19], v[24:25]
	v_fma_f64 v[24:25], v[75:76], s[16:17], v[24:25]
	s_delay_alu instid0(VALU_DEP_3) | instskip(SKIP_1) | instid1(VALU_DEP_4)
	v_fma_f64 v[14:15], v[91:92], s[16:17], v[26:27]
	v_fma_f64 v[26:27], v[91:92], s[18:19], v[26:27]
	;; [unrolled: 1-line block ×3, first 2 shown]
	s_delay_alu instid0(VALU_DEP_4) | instskip(NEXT) | instid1(VALU_DEP_4)
	v_fma_f64 v[24:25], v[77:78], s[12:13], v[24:25]
	v_fma_f64 v[14:15], v[93:94], s[12:13], v[14:15]
	s_delay_alu instid0(VALU_DEP_4) | instskip(NEXT) | instid1(VALU_DEP_4)
	v_fma_f64 v[26:27], v[93:94], s[14:15], v[26:27]
	v_fma_f64 v[12:13], v[16:17], s[2:3], v[12:13]
	s_delay_alu instid0(VALU_DEP_4) | instskip(SKIP_4) | instid1(VALU_DEP_4)
	v_fma_f64 v[16:17], v[16:17], s[2:3], v[24:25]
	v_add_f64 v[24:25], v[28:29], v[40:41]
	v_fma_f64 v[14:15], v[18:19], s[2:3], v[14:15]
	v_fma_f64 v[18:19], v[18:19], s[2:3], v[26:27]
	v_add_f64 v[26:27], v[30:31], v[42:43]
	v_fma_f64 v[24:25], v[24:25], -0.5, v[20:21]
	v_add_f64 v[20:21], v[20:21], v[28:29]
	s_delay_alu instid0(VALU_DEP_3) | instskip(SKIP_1) | instid1(VALU_DEP_3)
	v_fma_f64 v[26:27], v[26:27], -0.5, v[22:23]
	v_add_f64 v[22:23], v[22:23], v[30:31]
	v_add_f64 v[20:21], v[20:21], v[32:33]
	v_add_f64 v[32:33], v[34:35], -v[30:31]
	s_delay_alu instid0(VALU_DEP_3) | instskip(SKIP_1) | instid1(VALU_DEP_4)
	v_add_f64 v[22:23], v[22:23], v[34:35]
	v_add_f64 v[34:35], v[36:37], -v[40:41]
	v_add_f64 v[20:21], v[20:21], v[36:37]
	v_fma_f64 v[36:37], v[93:94], s[18:19], v[26:27]
	v_fma_f64 v[26:27], v[93:94], s[16:17], v[26:27]
	v_add_f64 v[93:94], v[62:63], -v[69:70]
	v_add_f64 v[22:23], v[22:23], v[38:39]
	v_add_f64 v[34:35], v[95:96], v[34:35]
	v_add_f64 v[28:29], v[20:21], v[40:41]
	v_add_f64 v[20:21], v[38:39], -v[42:43]
	v_fma_f64 v[36:37], v[91:92], s[12:13], v[36:37]
	v_fma_f64 v[38:39], v[91:92], s[14:15], v[26:27]
	v_add_f64 v[91:92], v[58:59], -v[73:74]
	v_add_f64 v[95:96], v[56:57], -v[71:72]
	v_add_f64 v[30:31], v[22:23], v[42:43]
	v_fma_f64 v[22:23], v[77:78], s[16:17], v[24:25]
	v_fma_f64 v[24:25], v[77:78], s[18:19], v[24:25]
	v_add_f64 v[32:33], v[32:33], v[20:21]
	ds_load_b128 v[40:43], v64 offset:160
	v_fma_f64 v[20:21], v[75:76], s[14:15], v[22:23]
	v_fma_f64 v[22:23], v[75:76], s[12:13], v[24:25]
	;; [unrolled: 1-line block ×3, first 2 shown]
	v_add_f64 v[36:37], v[73:74], -v[69:70]
	s_delay_alu instid0(VALU_DEP_4) | instskip(NEXT) | instid1(VALU_DEP_4)
	v_fma_f64 v[24:25], v[34:35], s[2:3], v[20:21]
	v_fma_f64 v[20:21], v[34:35], s[2:3], v[22:23]
	;; [unrolled: 1-line block ×3, first 2 shown]
	v_add_f64 v[32:33], v[56:57], -v[60:61]
	v_add_f64 v[34:35], v[71:72], -v[67:68]
	s_delay_alu instid0(VALU_DEP_1) | instskip(SKIP_1) | instid1(VALU_DEP_1)
	v_add_f64 v[32:33], v[32:33], v[34:35]
	v_add_f64 v[34:35], v[58:59], -v[62:63]
	v_add_f64 v[34:35], v[34:35], v[36:37]
	v_add_f64 v[36:37], v[60:61], v[67:68]
	s_waitcnt lgkmcnt(0)
	s_delay_alu instid0(VALU_DEP_1) | instskip(SKIP_1) | instid1(VALU_DEP_1)
	v_fma_f64 v[75:76], v[36:37], -0.5, v[40:41]
	v_add_f64 v[36:37], v[62:63], v[69:70]
	v_fma_f64 v[77:78], v[36:37], -0.5, v[42:43]
	s_delay_alu instid0(VALU_DEP_3) | instskip(SKIP_1) | instid1(VALU_DEP_3)
	v_fma_f64 v[36:37], v[91:92], s[18:19], v[75:76]
	v_fma_f64 v[75:76], v[91:92], s[16:17], v[75:76]
	;; [unrolled: 1-line block ×4, first 2 shown]
	s_delay_alu instid0(VALU_DEP_4) | instskip(NEXT) | instid1(VALU_DEP_4)
	v_fma_f64 v[36:37], v[93:94], s[14:15], v[36:37]
	v_fma_f64 v[75:76], v[93:94], s[12:13], v[75:76]
	s_delay_alu instid0(VALU_DEP_4) | instskip(NEXT) | instid1(VALU_DEP_4)
	v_fma_f64 v[38:39], v[97:98], s[12:13], v[38:39]
	v_fma_f64 v[77:78], v[97:98], s[14:15], v[77:78]
	;; [unrolled: 3-line block ×3, first 2 shown]
	v_add_f64 v[75:76], v[56:57], v[71:72]
	v_fma_f64 v[38:39], v[34:35], s[2:3], v[38:39]
	v_fma_f64 v[34:35], v[34:35], s[2:3], v[77:78]
	v_add_f64 v[77:78], v[58:59], v[73:74]
	s_delay_alu instid0(VALU_DEP_4) | instskip(SKIP_1) | instid1(VALU_DEP_3)
	v_fma_f64 v[75:76], v[75:76], -0.5, v[40:41]
	v_add_f64 v[40:41], v[40:41], v[56:57]
	v_fma_f64 v[77:78], v[77:78], -0.5, v[42:43]
	v_add_f64 v[42:43], v[42:43], v[58:59]
	s_delay_alu instid0(VALU_DEP_3) | instskip(SKIP_1) | instid1(VALU_DEP_3)
	v_add_f64 v[40:41], v[40:41], v[60:61]
	v_add_f64 v[60:61], v[62:63], -v[58:59]
	v_add_f64 v[42:43], v[42:43], v[62:63]
	v_add_f64 v[62:63], v[67:68], -v[71:72]
	s_delay_alu instid0(VALU_DEP_4) | instskip(SKIP_1) | instid1(VALU_DEP_4)
	v_add_f64 v[40:41], v[40:41], v[67:68]
	v_fma_f64 v[67:68], v[93:94], s[18:19], v[75:76]
	v_add_f64 v[42:43], v[42:43], v[69:70]
	s_delay_alu instid0(VALU_DEP_3)
	v_add_f64 v[56:57], v[40:41], v[71:72]
	v_add_f64 v[40:41], v[69:70], -v[73:74]
	v_fma_f64 v[71:72], v[97:98], s[16:17], v[77:78]
	v_fma_f64 v[69:70], v[97:98], s[18:19], v[77:78]
	v_add_f64 v[97:98], v[81:82], -v[85:86]
	v_add_f64 v[58:59], v[42:43], v[73:74]
	v_fma_f64 v[42:43], v[93:94], s[16:17], v[75:76]
	v_add_f64 v[73:74], v[99:100], v[62:63]
	v_add_f64 v[75:76], v[60:61], v[40:41]
	v_add_f64 v[99:100], v[148:149], -v[87:88]
	v_fma_f64 v[62:63], v[95:96], s[12:13], v[69:70]
	v_add_f64 v[69:70], v[87:88], -v[83:84]
	v_fma_f64 v[40:41], v[91:92], s[14:15], v[42:43]
	v_fma_f64 v[42:43], v[91:92], s[12:13], v[67:68]
	;; [unrolled: 1-line block ×3, first 2 shown]
	v_add_f64 v[71:72], v[79:80], v[83:84]
	v_fma_f64 v[62:63], v[75:76], s[2:3], v[62:63]
	v_add_f64 v[95:96], v[146:147], -v[89:90]
	v_fma_f64 v[60:61], v[73:74], s[2:3], v[40:41]
	v_fma_f64 v[40:41], v[73:74], s[2:3], v[42:43]
	;; [unrolled: 1-line block ×3, first 2 shown]
	v_add_f64 v[67:68], v[148:149], -v[79:80]
	s_delay_alu instid0(VALU_DEP_1) | instskip(SKIP_2) | instid1(VALU_DEP_1)
	v_add_f64 v[75:76], v[67:68], v[69:70]
	v_add_f64 v[67:68], v[146:147], -v[81:82]
	v_add_f64 v[69:70], v[89:90], -v[85:86]
	v_add_f64 v[77:78], v[67:68], v[69:70]
	ds_load_b128 v[67:70], v64 offset:240
	s_waitcnt lgkmcnt(0)
	v_fma_f64 v[91:92], v[71:72], -0.5, v[67:68]
	v_add_f64 v[71:72], v[81:82], v[85:86]
	s_delay_alu instid0(VALU_DEP_1) | instskip(NEXT) | instid1(VALU_DEP_3)
	v_fma_f64 v[93:94], v[71:72], -0.5, v[69:70]
	v_fma_f64 v[71:72], v[95:96], s[18:19], v[91:92]
	v_fma_f64 v[91:92], v[95:96], s[16:17], v[91:92]
	s_delay_alu instid0(VALU_DEP_3) | instskip(SKIP_1) | instid1(VALU_DEP_4)
	v_fma_f64 v[73:74], v[99:100], s[16:17], v[93:94]
	v_fma_f64 v[93:94], v[99:100], s[18:19], v[93:94]
	;; [unrolled: 1-line block ×3, first 2 shown]
	s_delay_alu instid0(VALU_DEP_4) | instskip(NEXT) | instid1(VALU_DEP_4)
	v_fma_f64 v[91:92], v[97:98], s[12:13], v[91:92]
	v_fma_f64 v[73:74], v[101:102], s[12:13], v[73:74]
	s_delay_alu instid0(VALU_DEP_4) | instskip(NEXT) | instid1(VALU_DEP_4)
	v_fma_f64 v[93:94], v[101:102], s[14:15], v[93:94]
	v_fma_f64 v[71:72], v[75:76], s[2:3], v[71:72]
	s_delay_alu instid0(VALU_DEP_4) | instskip(SKIP_4) | instid1(VALU_DEP_4)
	v_fma_f64 v[75:76], v[75:76], s[2:3], v[91:92]
	v_add_f64 v[91:92], v[148:149], v[87:88]
	v_fma_f64 v[73:74], v[77:78], s[2:3], v[73:74]
	v_fma_f64 v[77:78], v[77:78], s[2:3], v[93:94]
	v_add_f64 v[93:94], v[146:147], v[89:90]
	v_fma_f64 v[91:92], v[91:92], -0.5, v[67:68]
	v_add_f64 v[67:68], v[67:68], v[148:149]
	s_delay_alu instid0(VALU_DEP_3) | instskip(SKIP_1) | instid1(VALU_DEP_3)
	v_fma_f64 v[93:94], v[93:94], -0.5, v[69:70]
	v_add_f64 v[69:70], v[69:70], v[146:147]
	v_add_f64 v[67:68], v[67:68], v[79:80]
	v_add_f64 v[79:80], v[81:82], -v[146:147]
	s_delay_alu instid0(VALU_DEP_3) | instskip(SKIP_1) | instid1(VALU_DEP_4)
	v_add_f64 v[69:70], v[69:70], v[81:82]
	v_add_f64 v[81:82], v[83:84], -v[87:88]
	v_add_f64 v[67:68], v[67:68], v[83:84]
	v_add_f64 v[83:84], v[85:86], -v[89:90]
	s_delay_alu instid0(VALU_DEP_4) | instskip(SKIP_1) | instid1(VALU_DEP_4)
	v_add_f64 v[69:70], v[69:70], v[85:86]
	v_fma_f64 v[85:86], v[97:98], s[16:17], v[91:92]
	v_add_f64 v[67:68], v[67:68], v[87:88]
	v_fma_f64 v[87:88], v[97:98], s[18:19], v[91:92]
	v_fma_f64 v[91:92], v[101:102], s[16:17], v[93:94]
	v_add_f64 v[97:98], v[79:80], v[83:84]
	v_add_f64 v[69:70], v[69:70], v[89:90]
	v_fma_f64 v[89:90], v[101:102], s[18:19], v[93:94]
	v_add_f64 v[93:94], v[103:104], v[81:82]
	v_fma_f64 v[83:84], v[95:96], s[12:13], v[87:88]
	v_add_f64 v[87:88], v[134:135], -v[132:133]
	v_fma_f64 v[79:80], v[95:96], s[14:15], v[85:86]
	v_fma_f64 v[85:86], v[99:100], s[14:15], v[91:92]
	v_add_f64 v[91:92], v[132:133], v[142:143]
	v_add_f64 v[103:104], v[136:137], -v[138:139]
	v_fma_f64 v[81:82], v[99:100], s[12:13], v[89:90]
	v_add_f64 v[89:90], v[140:141], -v[142:143]
	v_fma_f64 v[83:84], v[93:94], s[2:3], v[83:84]
	v_fma_f64 v[79:80], v[93:94], s[2:3], v[79:80]
	;; [unrolled: 1-line block ×4, first 2 shown]
	v_add_f64 v[95:96], v[87:88], v[89:90]
	v_add_f64 v[87:88], v[136:137], -v[130:131]
	v_add_f64 v[89:90], v[138:139], -v[144:145]
	s_delay_alu instid0(VALU_DEP_1) | instskip(SKIP_4) | instid1(VALU_DEP_1)
	v_add_f64 v[97:98], v[87:88], v[89:90]
	ds_load_b128 v[87:90], v64 offset:320
	s_waitcnt lgkmcnt(0)
	v_fma_f64 v[99:100], v[91:92], -0.5, v[87:88]
	v_add_f64 v[91:92], v[130:131], v[144:145]
	v_fma_f64 v[101:102], v[91:92], -0.5, v[89:90]
	s_delay_alu instid0(VALU_DEP_3) | instskip(SKIP_1) | instid1(VALU_DEP_3)
	v_fma_f64 v[91:92], v[103:104], s[16:17], v[99:100]
	v_fma_f64 v[99:100], v[103:104], s[18:19], v[99:100]
	;; [unrolled: 1-line block ×4, first 2 shown]
	s_delay_alu instid0(VALU_DEP_4) | instskip(NEXT) | instid1(VALU_DEP_4)
	v_fma_f64 v[91:92], v[105:106], s[14:15], v[91:92]
	v_fma_f64 v[99:100], v[105:106], s[12:13], v[99:100]
	s_delay_alu instid0(VALU_DEP_4) | instskip(NEXT) | instid1(VALU_DEP_4)
	v_fma_f64 v[93:94], v[109:110], s[12:13], v[93:94]
	v_fma_f64 v[101:102], v[109:110], s[14:15], v[101:102]
	s_delay_alu instid0(VALU_DEP_4) | instskip(NEXT) | instid1(VALU_DEP_4)
	v_fma_f64 v[91:92], v[95:96], s[2:3], v[91:92]
	v_fma_f64 v[95:96], v[95:96], s[2:3], v[99:100]
	v_add_f64 v[99:100], v[134:135], v[140:141]
	v_fma_f64 v[93:94], v[97:98], s[2:3], v[93:94]
	v_fma_f64 v[97:98], v[97:98], s[2:3], v[101:102]
	v_add_f64 v[101:102], v[136:137], v[138:139]
	s_delay_alu instid0(VALU_DEP_4) | instskip(SKIP_1) | instid1(VALU_DEP_3)
	v_fma_f64 v[99:100], v[99:100], -0.5, v[87:88]
	v_add_f64 v[87:88], v[87:88], v[132:133]
	v_fma_f64 v[101:102], v[101:102], -0.5, v[89:90]
	v_add_f64 v[89:90], v[89:90], v[130:131]
	s_delay_alu instid0(VALU_DEP_4) | instskip(NEXT) | instid1(VALU_DEP_4)
	v_fma_f64 v[130:131], v[105:106], s[18:19], v[99:100]
	v_add_f64 v[87:88], v[87:88], v[134:135]
	v_fma_f64 v[99:100], v[105:106], s[16:17], v[99:100]
	v_fma_f64 v[105:106], v[109:110], s[16:17], v[101:102]
	v_add_f64 v[89:90], v[89:90], v[136:137]
	v_fma_f64 v[101:102], v[109:110], s[18:19], v[101:102]
	v_add_f64 v[87:88], v[87:88], v[140:141]
	v_add_f64 v[109:110], v[111:112], v[115:116]
	;; [unrolled: 1-line block ×3, first 2 shown]
	v_fma_f64 v[113:114], v[103:104], s[14:15], v[130:131]
	v_fma_f64 v[103:104], v[103:104], s[12:13], v[99:100]
	;; [unrolled: 1-line block ×3, first 2 shown]
	v_add_f64 v[89:90], v[89:90], v[138:139]
	v_fma_f64 v[107:108], v[107:108], s[14:15], v[101:102]
	v_add_f64 v[87:88], v[87:88], v[142:143]
	v_fma_f64 v[99:100], v[109:110], s[2:3], v[113:114]
	v_fma_f64 v[103:104], v[109:110], s[2:3], v[103:104]
	v_fma_f64 v[101:102], v[111:112], s[2:3], v[105:106]
	v_add_f64 v[89:90], v[89:90], v[144:145]
	v_fma_f64 v[105:106], v[111:112], s[2:3], v[107:108]
	ds_load_b128 v[107:110], v64 offset:400
	s_waitcnt lgkmcnt(0)
	s_barrier
	buffer_gl0_inv
	ds_store_b128 v64, v[8:11]
	ds_store_b128 v64, v[28:31] offset:80
	ds_store_b128 v64, v[56:59] offset:800
	;; [unrolled: 1-line block ×24, first 2 shown]
	v_add_f64 v[0:1], v[50:51], -v[46:47]
	v_add_f64 v[2:3], v[54:55], -v[65:66]
	;; [unrolled: 1-line block ×10, first 2 shown]
	v_add_f64 v[4:5], v[0:1], v[2:3]
	v_add_f64 v[0:1], v[52:53], -v[44:45]
	v_add_f64 v[2:3], v[48:49], -v[128:129]
	s_delay_alu instid0(VALU_DEP_1) | instskip(SKIP_1) | instid1(VALU_DEP_1)
	v_add_f64 v[6:7], v[0:1], v[2:3]
	v_add_f64 v[0:1], v[46:47], v[65:66]
	v_fma_f64 v[8:9], v[0:1], -0.5, v[107:108]
	v_add_f64 v[0:1], v[44:45], v[128:129]
	s_delay_alu instid0(VALU_DEP_1) | instskip(NEXT) | instid1(VALU_DEP_3)
	v_fma_f64 v[10:11], v[0:1], -0.5, v[109:110]
	v_fma_f64 v[0:1], v[12:13], s[16:17], v[8:9]
	v_fma_f64 v[8:9], v[12:13], s[18:19], v[8:9]
	s_delay_alu instid0(VALU_DEP_3) | instskip(NEXT) | instid1(VALU_DEP_3)
	v_fma_f64 v[2:3], v[16:17], s[18:19], v[10:11]
	v_fma_f64 v[0:1], v[14:15], s[14:15], v[0:1]
	s_delay_alu instid0(VALU_DEP_3) | instskip(SKIP_1) | instid1(VALU_DEP_4)
	v_fma_f64 v[8:9], v[14:15], s[12:13], v[8:9]
	v_fma_f64 v[10:11], v[16:17], s[16:17], v[10:11]
	;; [unrolled: 1-line block ×3, first 2 shown]
	s_delay_alu instid0(VALU_DEP_4) | instskip(NEXT) | instid1(VALU_DEP_4)
	v_fma_f64 v[0:1], v[4:5], s[2:3], v[0:1]
	v_fma_f64 v[4:5], v[4:5], s[2:3], v[8:9]
	v_add_f64 v[8:9], v[50:51], v[54:55]
	v_fma_f64 v[10:11], v[18:19], s[14:15], v[10:11]
	v_fma_f64 v[2:3], v[6:7], s[2:3], v[2:3]
	s_delay_alu instid0(VALU_DEP_3) | instskip(SKIP_1) | instid1(VALU_DEP_4)
	v_fma_f64 v[20:21], v[8:9], -0.5, v[107:108]
	v_add_f64 v[8:9], v[52:53], v[48:49]
	v_fma_f64 v[6:7], v[6:7], s[2:3], v[10:11]
	v_add_f64 v[10:11], v[109:110], v[44:45]
	s_delay_alu instid0(VALU_DEP_4) | instskip(NEXT) | instid1(VALU_DEP_4)
	v_fma_f64 v[32:33], v[14:15], s[18:19], v[20:21]
	v_fma_f64 v[22:23], v[8:9], -0.5, v[109:110]
	v_add_f64 v[8:9], v[107:108], v[46:47]
	s_delay_alu instid0(VALU_DEP_4) | instskip(SKIP_1) | instid1(VALU_DEP_4)
	v_add_f64 v[10:11], v[10:11], v[52:53]
	v_fma_f64 v[14:15], v[14:15], s[16:17], v[20:21]
	v_fma_f64 v[20:21], v[18:19], s[16:17], v[22:23]
	s_delay_alu instid0(VALU_DEP_4)
	v_add_f64 v[8:9], v[8:9], v[50:51]
	v_fma_f64 v[18:19], v[18:19], s[18:19], v[22:23]
	v_add_f64 v[10:11], v[10:11], v[48:49]
	v_add_f64 v[22:23], v[24:25], v[28:29]
	;; [unrolled: 1-line block ×3, first 2 shown]
	v_fma_f64 v[26:27], v[12:13], s[14:15], v[32:33]
	v_fma_f64 v[28:29], v[12:13], s[12:13], v[14:15]
	;; [unrolled: 1-line block ×3, first 2 shown]
	v_add_f64 v[8:9], v[8:9], v[54:55]
	v_fma_f64 v[18:19], v[16:17], s[14:15], v[18:19]
	v_add_f64 v[10:11], v[10:11], v[128:129]
	v_fma_f64 v[12:13], v[22:23], s[2:3], v[26:27]
	v_fma_f64 v[16:17], v[22:23], s[2:3], v[28:29]
	;; [unrolled: 1-line block ×3, first 2 shown]
	v_add_f64 v[8:9], v[8:9], v[65:66]
	v_fma_f64 v[18:19], v[24:25], s[2:3], v[18:19]
	ds_store_b128 v198, v[8:11] offset:1600
	ds_store_b128 v198, v[12:15] offset:1760
	;; [unrolled: 1-line block ×5, first 2 shown]
	s_waitcnt lgkmcnt(0)
	s_barrier
	buffer_gl0_inv
	s_clause 0x3
	scratch_load_b128 v[6:9], off, off offset:624
	scratch_load_b128 v[10:13], off, off offset:592
	;; [unrolled: 1-line block ×4, first 2 shown]
	ds_load_b128 v[0:3], v64 offset:800
	s_mov_b32 s2, 0xb4e81b4f
	s_mov_b32 s3, 0x3f7b4e81
	s_waitcnt vmcnt(3) lgkmcnt(0)
	v_mul_f64 v[4:5], v[8:9], v[2:3]
	s_delay_alu instid0(VALU_DEP_1) | instskip(SKIP_1) | instid1(VALU_DEP_1)
	v_fma_f64 v[4:5], v[6:7], v[0:1], v[4:5]
	v_mul_f64 v[0:1], v[8:9], v[0:1]
	v_fma_f64 v[6:7], v[6:7], v[2:3], -v[0:1]
	ds_load_b128 v[0:3], v64 offset:1600
	s_waitcnt vmcnt(2) lgkmcnt(0)
	v_mul_f64 v[8:9], v[12:13], v[2:3]
	s_delay_alu instid0(VALU_DEP_1) | instskip(SKIP_1) | instid1(VALU_DEP_1)
	v_fma_f64 v[8:9], v[10:11], v[0:1], v[8:9]
	v_mul_f64 v[0:1], v[12:13], v[0:1]
	v_fma_f64 v[10:11], v[10:11], v[2:3], -v[0:1]
	ds_load_b128 v[0:3], v64 offset:880
	s_waitcnt vmcnt(1) lgkmcnt(0)
	v_mul_f64 v[12:13], v[20:21], v[2:3]
	v_add_f64 v[14:15], v[6:7], v[10:11]
	s_delay_alu instid0(VALU_DEP_2) | instskip(SKIP_1) | instid1(VALU_DEP_1)
	v_fma_f64 v[16:17], v[18:19], v[0:1], v[12:13]
	v_mul_f64 v[0:1], v[20:21], v[0:1]
	v_fma_f64 v[18:19], v[18:19], v[2:3], -v[0:1]
	ds_load_b128 v[0:3], v64 offset:1680
	s_waitcnt vmcnt(0) lgkmcnt(0)
	v_mul_f64 v[12:13], v[24:25], v[2:3]
	s_delay_alu instid0(VALU_DEP_1)
	v_fma_f64 v[20:21], v[22:23], v[0:1], v[12:13]
	v_mul_f64 v[0:1], v[24:25], v[0:1]
	scratch_load_b128 v[24:27], off, off offset:608 ; 16-byte Folded Reload
	v_fma_f64 v[22:23], v[22:23], v[2:3], -v[0:1]
	ds_load_b128 v[0:3], v64 offset:960
	s_waitcnt vmcnt(0) lgkmcnt(0)
	v_mul_f64 v[12:13], v[26:27], v[2:3]
	s_delay_alu instid0(VALU_DEP_1) | instskip(SKIP_2) | instid1(VALU_DEP_2)
	v_fma_f64 v[28:29], v[24:25], v[0:1], v[12:13]
	v_mul_f64 v[0:1], v[26:27], v[0:1]
	v_add_f64 v[26:27], v[18:19], v[22:23]
	v_fma_f64 v[30:31], v[24:25], v[2:3], -v[0:1]
	ds_load_b128 v[0:3], v64 offset:1760
	v_add_f64 v[24:25], v[16:17], v[20:21]
	s_waitcnt lgkmcnt(0)
	v_mul_f64 v[12:13], v[190:191], v[2:3]
	s_delay_alu instid0(VALU_DEP_1) | instskip(SKIP_1) | instid1(VALU_DEP_2)
	v_fma_f64 v[32:33], v[188:189], v[0:1], v[12:13]
	v_mul_f64 v[0:1], v[190:191], v[0:1]
	v_add_f64 v[36:37], v[28:29], v[32:33]
	s_delay_alu instid0(VALU_DEP_2) | instskip(SKIP_4) | instid1(VALU_DEP_2)
	v_fma_f64 v[34:35], v[188:189], v[2:3], -v[0:1]
	ds_load_b128 v[0:3], v64 offset:1040
	s_waitcnt lgkmcnt(0)
	v_mul_f64 v[12:13], v[194:195], v[2:3]
	v_add_f64 v[38:39], v[30:31], v[34:35]
	v_fma_f64 v[40:41], v[192:193], v[0:1], v[12:13]
	v_mul_f64 v[0:1], v[194:195], v[0:1]
	s_delay_alu instid0(VALU_DEP_1) | instskip(SKIP_3) | instid1(VALU_DEP_1)
	v_fma_f64 v[42:43], v[192:193], v[2:3], -v[0:1]
	ds_load_b128 v[0:3], v64 offset:1840
	s_waitcnt lgkmcnt(0)
	v_mul_f64 v[12:13], v[186:187], v[2:3]
	v_fma_f64 v[44:45], v[184:185], v[0:1], v[12:13]
	v_mul_f64 v[0:1], v[186:187], v[0:1]
	s_delay_alu instid0(VALU_DEP_2) | instskip(NEXT) | instid1(VALU_DEP_2)
	v_add_f64 v[48:49], v[40:41], v[44:45]
	v_fma_f64 v[46:47], v[184:185], v[2:3], -v[0:1]
	ds_load_b128 v[0:3], v64 offset:1120
	s_waitcnt lgkmcnt(0)
	v_mul_f64 v[12:13], v[182:183], v[2:3]
	v_add_f64 v[50:51], v[42:43], v[46:47]
	s_delay_alu instid0(VALU_DEP_2) | instskip(SKIP_1) | instid1(VALU_DEP_1)
	v_fma_f64 v[52:53], v[180:181], v[0:1], v[12:13]
	v_mul_f64 v[0:1], v[182:183], v[0:1]
	v_fma_f64 v[54:55], v[180:181], v[2:3], -v[0:1]
	ds_load_b128 v[0:3], v64 offset:1920
	s_waitcnt lgkmcnt(0)
	v_mul_f64 v[12:13], v[210:211], v[2:3]
	s_delay_alu instid0(VALU_DEP_1) | instskip(SKIP_1) | instid1(VALU_DEP_2)
	v_fma_f64 v[56:57], v[208:209], v[0:1], v[12:13]
	v_mul_f64 v[0:1], v[210:211], v[0:1]
	v_add_f64 v[60:61], v[52:53], v[56:57]
	s_delay_alu instid0(VALU_DEP_2) | instskip(SKIP_4) | instid1(VALU_DEP_2)
	v_fma_f64 v[58:59], v[208:209], v[2:3], -v[0:1]
	ds_load_b128 v[0:3], v64 offset:1200
	s_waitcnt lgkmcnt(0)
	v_mul_f64 v[12:13], v[218:219], v[2:3]
	v_add_f64 v[62:63], v[54:55], v[58:59]
	v_fma_f64 v[65:66], v[216:217], v[0:1], v[12:13]
	v_mul_f64 v[0:1], v[218:219], v[0:1]
	s_delay_alu instid0(VALU_DEP_1) | instskip(SKIP_3) | instid1(VALU_DEP_1)
	v_fma_f64 v[67:68], v[216:217], v[2:3], -v[0:1]
	ds_load_b128 v[0:3], v64 offset:2000
	s_waitcnt lgkmcnt(0)
	v_mul_f64 v[12:13], v[226:227], v[2:3]
	v_fma_f64 v[69:70], v[224:225], v[0:1], v[12:13]
	v_mul_f64 v[0:1], v[226:227], v[0:1]
	s_delay_alu instid0(VALU_DEP_2) | instskip(NEXT) | instid1(VALU_DEP_2)
	v_add_f64 v[73:74], v[65:66], v[69:70]
	v_fma_f64 v[71:72], v[224:225], v[2:3], -v[0:1]
	ds_load_b128 v[0:3], v64 offset:1280
	s_waitcnt lgkmcnt(0)
	v_mul_f64 v[12:13], v[178:179], v[2:3]
	v_add_f64 v[75:76], v[67:68], v[71:72]
	s_delay_alu instid0(VALU_DEP_2) | instskip(SKIP_1) | instid1(VALU_DEP_1)
	v_fma_f64 v[77:78], v[176:177], v[0:1], v[12:13]
	v_mul_f64 v[0:1], v[178:179], v[0:1]
	v_fma_f64 v[79:80], v[176:177], v[2:3], -v[0:1]
	ds_load_b128 v[0:3], v64 offset:2080
	;; [unrolled: 33-line block ×3, first 2 shown]
	s_waitcnt lgkmcnt(0)
	v_mul_f64 v[12:13], v[254:255], v[2:3]
	s_delay_alu instid0(VALU_DEP_1) | instskip(SKIP_1) | instid1(VALU_DEP_2)
	v_fma_f64 v[105:106], v[252:253], v[0:1], v[12:13]
	v_mul_f64 v[0:1], v[254:255], v[0:1]
	v_add_f64 v[109:110], v[101:102], v[105:106]
	s_delay_alu instid0(VALU_DEP_2) | instskip(SKIP_4) | instid1(VALU_DEP_2)
	v_fma_f64 v[107:108], v[252:253], v[2:3], -v[0:1]
	ds_load_b128 v[0:3], v64 offset:1520
	s_waitcnt lgkmcnt(0)
	v_mul_f64 v[12:13], v[222:223], v[2:3]
	v_add_f64 v[111:112], v[103:104], v[107:108]
	v_fma_f64 v[113:114], v[220:221], v[0:1], v[12:13]
	v_mul_f64 v[0:1], v[222:223], v[0:1]
	s_delay_alu instid0(VALU_DEP_1) | instskip(SKIP_3) | instid1(VALU_DEP_1)
	v_fma_f64 v[115:116], v[220:221], v[2:3], -v[0:1]
	ds_load_b128 v[0:3], v64 offset:2320
	s_waitcnt lgkmcnt(0)
	v_mul_f64 v[12:13], v[214:215], v[2:3]
	v_fma_f64 v[117:118], v[212:213], v[0:1], v[12:13]
	v_mul_f64 v[0:1], v[214:215], v[0:1]
	v_add_f64 v[12:13], v[4:5], v[8:9]
	s_delay_alu instid0(VALU_DEP_3) | instskip(NEXT) | instid1(VALU_DEP_3)
	v_add_f64 v[121:122], v[113:114], v[117:118]
	v_fma_f64 v[119:120], v[212:213], v[2:3], -v[0:1]
	ds_load_b128 v[0:3], v64
	s_waitcnt lgkmcnt(0)
	v_fma_f64 v[14:15], v[14:15], -0.5, v[2:3]
	v_add_f64 v[2:3], v[2:3], v[6:7]
	v_fma_f64 v[12:13], v[12:13], -0.5, v[0:1]
	v_add_f64 v[0:1], v[0:1], v[4:5]
	v_add_f64 v[6:7], v[6:7], -v[10:11]
	v_add_f64 v[123:124], v[115:116], v[119:120]
	v_add_f64 v[125:126], v[115:116], -v[119:120]
	;; [unrolled: 2-line block ×3, first 2 shown]
	v_add_f64 v[0:1], v[0:1], v[8:9]
	v_fma_f64 v[4:5], v[6:7], s[10:11], v[12:13]
	v_fma_f64 v[8:9], v[6:7], s[22:23], v[12:13]
	s_delay_alu instid0(VALU_DEP_4)
	v_fma_f64 v[6:7], v[10:11], s[22:23], v[14:15]
	v_fma_f64 v[10:11], v[10:11], s[10:11], v[14:15]
	ds_load_b128 v[12:15], v64 offset:80
	s_waitcnt lgkmcnt(0)
	v_fma_f64 v[26:27], v[26:27], -0.5, v[14:15]
	v_add_f64 v[14:15], v[14:15], v[18:19]
	v_fma_f64 v[24:25], v[24:25], -0.5, v[12:13]
	v_add_f64 v[12:13], v[12:13], v[16:17]
	v_add_f64 v[18:19], v[18:19], -v[22:23]
	s_delay_alu instid0(VALU_DEP_4) | instskip(SKIP_1) | instid1(VALU_DEP_4)
	v_add_f64 v[14:15], v[14:15], v[22:23]
	v_add_f64 v[22:23], v[16:17], -v[20:21]
	v_add_f64 v[12:13], v[12:13], v[20:21]
	s_delay_alu instid0(VALU_DEP_4) | instskip(SKIP_1) | instid1(VALU_DEP_4)
	v_fma_f64 v[16:17], v[18:19], s[10:11], v[24:25]
	v_fma_f64 v[20:21], v[18:19], s[22:23], v[24:25]
	v_fma_f64 v[18:19], v[22:23], s[22:23], v[26:27]
	v_fma_f64 v[22:23], v[22:23], s[10:11], v[26:27]
	ds_load_b128 v[24:27], v64 offset:160
	s_waitcnt lgkmcnt(0)
	v_fma_f64 v[38:39], v[38:39], -0.5, v[26:27]
	v_add_f64 v[26:27], v[26:27], v[30:31]
	v_fma_f64 v[36:37], v[36:37], -0.5, v[24:25]
	v_add_f64 v[24:25], v[24:25], v[28:29]
	v_add_f64 v[30:31], v[30:31], -v[34:35]
	s_delay_alu instid0(VALU_DEP_4) | instskip(SKIP_1) | instid1(VALU_DEP_4)
	v_add_f64 v[26:27], v[26:27], v[34:35]
	v_add_f64 v[34:35], v[28:29], -v[32:33]
	v_add_f64 v[24:25], v[24:25], v[32:33]
	s_delay_alu instid0(VALU_DEP_4) | instskip(SKIP_1) | instid1(VALU_DEP_4)
	v_fma_f64 v[28:29], v[30:31], s[10:11], v[36:37]
	v_fma_f64 v[32:33], v[30:31], s[22:23], v[36:37]
	;; [unrolled: 16-line block ×8, first 2 shown]
	v_fma_f64 v[103:104], v[107:108], s[22:23], v[111:112]
	v_fma_f64 v[107:108], v[107:108], s[10:11], v[111:112]
	ds_load_b128 v[109:112], v64 offset:720
	s_waitcnt lgkmcnt(0)
	v_fma_f64 v[123:124], v[123:124], -0.5, v[111:112]
	v_add_f64 v[111:112], v[111:112], v[115:116]
	v_fma_f64 v[121:122], v[121:122], -0.5, v[109:110]
	v_add_f64 v[109:110], v[109:110], v[113:114]
	s_delay_alu instid0(VALU_DEP_3) | instskip(SKIP_1) | instid1(VALU_DEP_3)
	v_add_f64 v[111:112], v[111:112], v[119:120]
	v_add_f64 v[119:120], v[113:114], -v[117:118]
	v_add_f64 v[109:110], v[109:110], v[117:118]
	v_fma_f64 v[113:114], v[125:126], s[10:11], v[121:122]
	v_fma_f64 v[117:118], v[125:126], s[22:23], v[121:122]
	s_delay_alu instid0(VALU_DEP_4)
	v_fma_f64 v[115:116], v[119:120], s[22:23], v[123:124]
	v_fma_f64 v[119:120], v[119:120], s[10:11], v[123:124]
	ds_store_b128 v64, v[0:3]
	ds_store_b128 v64, v[12:15] offset:80
	ds_store_b128 v64, v[4:7] offset:800
	;; [unrolled: 1-line block ×29, first 2 shown]
	s_waitcnt lgkmcnt(0)
	s_barrier
	buffer_gl0_inv
	s_clause 0x5
	scratch_load_b128 v[6:9], off, off offset:480
	scratch_load_b128 v[10:13], off, off offset:464
	;; [unrolled: 1-line block ×6, first 2 shown]
	ds_load_b128 v[0:3], v64
	s_clause 0xf
	scratch_load_b128 v[30:33], off, off offset:384
	scratch_load_b128 v[34:37], off, off offset:368
	;; [unrolled: 1-line block ×16, first 2 shown]
	v_mov_b32_e32 v99, v237
	s_waitcnt vmcnt(21) lgkmcnt(0)
	v_mul_f64 v[4:5], v[8:9], v[2:3]
	s_delay_alu instid0(VALU_DEP_1) | instskip(SKIP_1) | instid1(VALU_DEP_1)
	v_fma_f64 v[4:5], v[6:7], v[0:1], v[4:5]
	v_mul_f64 v[0:1], v[8:9], v[0:1]
	v_fma_f64 v[6:7], v[6:7], v[2:3], -v[0:1]
	ds_load_b128 v[0:3], v64 offset:240
	s_waitcnt vmcnt(20) lgkmcnt(0)
	v_mul_f64 v[8:9], v[12:13], v[2:3]
	s_delay_alu instid0(VALU_DEP_1) | instskip(SKIP_1) | instid1(VALU_DEP_1)
	v_fma_f64 v[8:9], v[10:11], v[0:1], v[8:9]
	v_mul_f64 v[0:1], v[12:13], v[0:1]
	v_fma_f64 v[10:11], v[10:11], v[2:3], -v[0:1]
	ds_load_b128 v[0:3], v64 offset:480
	;; [unrolled: 7-line block ×5, first 2 shown]
	s_waitcnt lgkmcnt(0)
	v_mul_f64 v[24:25], v[28:29], v[2:3]
	s_delay_alu instid0(VALU_DEP_1) | instskip(SKIP_1) | instid1(VALU_DEP_1)
	v_fma_f64 v[24:25], v[26:27], v[0:1], v[24:25]
	v_mul_f64 v[0:1], v[28:29], v[0:1]
	v_fma_f64 v[26:27], v[26:27], v[2:3], -v[0:1]
	ds_load_b128 v[0:3], v64 offset:1440
	s_waitcnt vmcnt(15) lgkmcnt(0)
	v_mul_f64 v[28:29], v[32:33], v[2:3]
	s_delay_alu instid0(VALU_DEP_1) | instskip(SKIP_1) | instid1(VALU_DEP_1)
	v_fma_f64 v[28:29], v[30:31], v[0:1], v[28:29]
	v_mul_f64 v[0:1], v[32:33], v[0:1]
	v_fma_f64 v[30:31], v[30:31], v[2:3], -v[0:1]
	ds_load_b128 v[0:3], v64 offset:1680
	s_waitcnt vmcnt(14) lgkmcnt(0)
	;; [unrolled: 7-line block ×8, first 2 shown]
	v_mul_f64 v[56:57], v[60:61], v[2:3]
	s_delay_alu instid0(VALU_DEP_1) | instskip(SKIP_1) | instid1(VALU_DEP_1)
	v_fma_f64 v[56:57], v[58:59], v[0:1], v[56:57]
	v_mul_f64 v[0:1], v[60:61], v[0:1]
	v_fma_f64 v[58:59], v[58:59], v[2:3], -v[0:1]
	ds_load_b128 v[0:3], v64 offset:1040
	s_waitcnt lgkmcnt(0)
	v_mul_f64 v[60:61], v[67:68], v[2:3]
	s_delay_alu instid0(VALU_DEP_1)
	v_fma_f64 v[60:61], v[65:66], v[0:1], v[60:61]
	v_mul_f64 v[0:1], v[67:68], v[0:1]
	scratch_load_b128 v[67:70], off, off offset:136 ; 16-byte Folded Reload
	v_fma_f64 v[62:63], v[65:66], v[2:3], -v[0:1]
	ds_load_b128 v[0:3], v64 offset:1280
	s_waitcnt vmcnt(0) lgkmcnt(0)
	v_mul_f64 v[65:66], v[69:70], v[2:3]
	s_delay_alu instid0(VALU_DEP_1) | instskip(SKIP_1) | instid1(VALU_DEP_1)
	v_fma_f64 v[65:66], v[67:68], v[0:1], v[65:66]
	v_mul_f64 v[0:1], v[69:70], v[0:1]
	v_fma_f64 v[67:68], v[67:68], v[2:3], -v[0:1]
	ds_load_b128 v[0:3], v64 offset:1520
	s_waitcnt lgkmcnt(0)
	v_mul_f64 v[69:70], v[73:74], v[2:3]
	s_delay_alu instid0(VALU_DEP_1) | instskip(SKIP_1) | instid1(VALU_DEP_1)
	v_fma_f64 v[69:70], v[71:72], v[0:1], v[69:70]
	v_mul_f64 v[0:1], v[73:74], v[0:1]
	v_fma_f64 v[71:72], v[71:72], v[2:3], -v[0:1]
	ds_load_b128 v[0:3], v64 offset:1760
	s_waitcnt lgkmcnt(0)
	;; [unrolled: 7-line block ×7, first 2 shown]
	v_mul_f64 v[93:94], v[97:98], v[2:3]
	s_delay_alu instid0(VALU_DEP_1) | instskip(SKIP_1) | instid1(VALU_DEP_1)
	v_fma_f64 v[93:94], v[95:96], v[0:1], v[93:94]
	v_mul_f64 v[0:1], v[97:98], v[0:1]
	v_fma_f64 v[95:96], v[95:96], v[2:3], -v[0:1]
	scratch_load_b64 v[0:1], off, off offset:248 ; 8-byte Folded Reload
	s_waitcnt vmcnt(0)
	v_mov_b32_e32 v3, v0
	s_delay_alu instid0(VALU_DEP_1) | instskip(SKIP_1) | instid1(VALU_DEP_1)
	v_mad_u64_u32 v[97:98], null, s6, v3, 0
	s_mul_i32 s6, s4, 0xf0
	v_mov_b32_e32 v0, v98
	s_delay_alu instid0(VALU_DEP_1) | instskip(SKIP_2) | instid1(VALU_DEP_2)
	v_mad_u64_u32 v[1:2], null, s7, v3, v[0:1]
	v_mul_f64 v[2:3], v[6:7], s[2:3]
	s_mul_hi_u32 s7, s4, 0x1e0
	v_mov_b32_e32 v98, v1
	v_mul_f64 v[0:1], v[4:5], s[2:3]
	v_mad_u64_u32 v[4:5], null, s4, v99, 0
	s_delay_alu instid0(VALU_DEP_1) | instskip(NEXT) | instid1(VALU_DEP_1)
	v_mad_u64_u32 v[6:7], null, s5, v99, v[5:6]
	v_mov_b32_e32 v5, v6
	v_lshlrev_b64 v[6:7], 4, v[97:98]
	s_delay_alu instid0(VALU_DEP_2) | instskip(NEXT) | instid1(VALU_DEP_2)
	v_lshlrev_b64 v[4:5], 4, v[4:5]
	v_add_co_u32 v107, vcc_lo, s0, v6
	s_delay_alu instid0(VALU_DEP_3) | instskip(SKIP_1) | instid1(VALU_DEP_2)
	v_add_co_ci_u32_e32 v108, vcc_lo, s1, v7, vcc_lo
	s_mul_i32 s0, s5, 0xf0
	v_add_co_u32 v4, vcc_lo, v107, v4
	s_delay_alu instid0(VALU_DEP_2)
	v_add_co_ci_u32_e32 v5, vcc_lo, v108, v5, vcc_lo
	s_mul_hi_u32 s1, s4, 0xf0
	v_mul_f64 v[6:7], v[30:31], s[2:3]
	s_add_i32 s1, s1, s0
	s_mul_i32 s0, s5, 0x1e0
	global_store_b128 v[4:5], v[0:3], off
	v_mul_f64 v[0:1], v[8:9], s[2:3]
	v_mul_f64 v[2:3], v[10:11], s[2:3]
	v_add_co_u32 v4, vcc_lo, v4, s6
	v_add_co_ci_u32_e32 v5, vcc_lo, s1, v5, vcc_lo
	v_mul_f64 v[10:11], v[38:39], s[2:3]
	s_add_i32 s7, s7, s0
	s_mul_i32 s0, s4, 0x1e0
	global_store_b128 v[4:5], v[0:3], off
	v_mul_f64 v[0:1], v[12:13], s[2:3]
	v_mul_f64 v[2:3], v[14:15], s[2:3]
	v_add_co_u32 v4, vcc_lo, v4, s6
	v_add_co_ci_u32_e32 v5, vcc_lo, s1, v5, vcc_lo
	global_store_b128 v[4:5], v[0:3], off
	v_mul_f64 v[0:1], v[16:17], s[2:3]
	v_mul_f64 v[2:3], v[18:19], s[2:3]
	v_add_co_u32 v4, vcc_lo, v4, s6
	v_add_co_ci_u32_e32 v5, vcc_lo, s1, v5, vcc_lo
	ds_load_b128 v[16:19], v64 offset:880
	v_add_co_u32 v8, vcc_lo, v4, s6
	v_add_co_ci_u32_e32 v9, vcc_lo, s1, v5, vcc_lo
	s_delay_alu instid0(VALU_DEP_2) | instskip(NEXT) | instid1(VALU_DEP_2)
	v_add_co_u32 v12, vcc_lo, v8, s6
	v_add_co_ci_u32_e32 v13, vcc_lo, s1, v9, vcc_lo
	global_store_b128 v[4:5], v[0:3], off
	v_mul_f64 v[0:1], v[20:21], s[2:3]
	v_mul_f64 v[2:3], v[22:23], s[2:3]
	;; [unrolled: 1-line block ×3, first 2 shown]
	v_add_co_u32 v22, vcc_lo, v12, s6
	v_add_co_ci_u32_e32 v23, vcc_lo, s1, v13, vcc_lo
	scratch_load_b128 v[28:31], off, off offset:120 ; 16-byte Folded Reload
	global_store_b128 v[8:9], v[0:3], off
	scratch_load_b32 v9, off, off offset:4  ; 4-byte Folded Reload
	v_mul_f64 v[0:1], v[24:25], s[2:3]
	v_mul_f64 v[2:3], v[26:27], s[2:3]
	v_add_co_u32 v24, vcc_lo, v22, s6
	v_add_co_ci_u32_e32 v25, vcc_lo, s1, v23, vcc_lo
	global_store_b128 v[12:13], v[0:3], off
	v_mul_f64 v[0:1], v[32:33], s[2:3]
	v_mul_f64 v[2:3], v[34:35], s[2:3]
	;; [unrolled: 1-line block ×3, first 2 shown]
	global_store_b128 v[22:23], v[4:7], off
	v_mul_f64 v[4:5], v[44:45], s[2:3]
	v_mul_f64 v[6:7], v[46:47], s[2:3]
	v_mul_f64 v[22:23], v[50:51], s[2:3]
	global_store_b128 v[24:25], v[0:3], off
	ds_load_b128 v[0:3], v64 offset:1120
	s_waitcnt vmcnt(1) lgkmcnt(1)
	v_mul_f64 v[32:33], v[30:31], v[18:19]
	v_mul_f64 v[34:35], v[30:31], v[16:17]
	v_dual_mov_b32 v45, v29 :: v_dual_mov_b32 v44, v28
	ds_load_b128 v[28:31], v64 offset:1360
	s_waitcnt vmcnt(0)
	v_mad_u64_u32 v[20:21], null, s4, v9, 0
	v_fma_f64 v[50:51], v[44:45], v[18:19], -v[34:35]
	s_delay_alu instid0(VALU_DEP_2) | instskip(NEXT) | instid1(VALU_DEP_1)
	v_mov_b32_e32 v8, v21
	v_mad_u64_u32 v[14:15], null, s5, v9, v[8:9]
	v_mul_f64 v[8:9], v[36:37], s[2:3]
	s_delay_alu instid0(VALU_DEP_2) | instskip(SKIP_1) | instid1(VALU_DEP_2)
	v_mov_b32_e32 v21, v14
	v_mul_f64 v[14:15], v[42:43], s[2:3]
	v_lshlrev_b64 v[26:27], 4, v[20:21]
	v_mul_f64 v[20:21], v[48:49], s[2:3]
	v_fma_f64 v[48:49], v[44:45], v[16:17], v[32:33]
	scratch_load_b128 v[16:19], off, off offset:88 ; 16-byte Folded Reload
	v_add_co_u32 v26, vcc_lo, v107, v26
	v_add_co_ci_u32_e32 v27, vcc_lo, v108, v27, vcc_lo
	v_add_co_u32 v36, vcc_lo, v24, s0
	v_add_co_ci_u32_e32 v37, vcc_lo, s7, v25, vcc_lo
	v_mul_f64 v[24:25], v[56:57], s[2:3]
	s_delay_alu instid0(VALU_DEP_2) | instskip(NEXT) | instid1(VALU_DEP_1)
	v_mad_u64_u32 v[38:39], null, 0xfffff7e0, s4, v[36:37]
	v_add_nc_u32_e32 v39, s8, v39
	global_store_b128 v[26:27], v[8:11], off
	v_mul_f64 v[8:9], v[52:53], s[2:3]
	v_mul_f64 v[10:11], v[54:55], s[2:3]
	;; [unrolled: 1-line block ×3, first 2 shown]
	global_store_b128 v[36:37], v[12:15], off
	v_add_co_u32 v36, vcc_lo, v38, s6
	v_add_co_ci_u32_e32 v37, vcc_lo, s1, v39, vcc_lo
	global_store_b128 v[38:39], v[4:7], off
	ds_load_b128 v[12:15], v64 offset:1600
	ds_load_b128 v[4:7], v64 offset:2080
	global_store_b128 v[36:37], v[20:23], off
	scratch_load_b128 v[20:23], off, off offset:72 ; 16-byte Folded Reload
	s_waitcnt vmcnt(1) lgkmcnt(2)
	v_mul_f64 v[44:45], v[18:19], v[30:31]
	v_mul_f64 v[46:47], v[18:19], v[28:29]
	v_dual_mov_b32 v102, v17 :: v_dual_mov_b32 v101, v16
	v_add_co_u32 v16, vcc_lo, v36, s6
	v_add_co_ci_u32_e32 v17, vcc_lo, s1, v37, vcc_lo
	v_mul_f64 v[36:37], v[81:82], s[2:3]
	s_delay_alu instid0(VALU_DEP_3) | instskip(NEXT) | instid1(VALU_DEP_3)
	v_add_co_u32 v32, vcc_lo, v16, s6
	v_add_co_ci_u32_e32 v33, vcc_lo, s1, v17, vcc_lo
	global_store_b128 v[16:17], v[8:11], off
	v_add_co_u32 v52, vcc_lo, v32, s6
	ds_load_b128 v[8:11], v64 offset:1840
	global_store_b128 v[32:33], v[24:27], off
	v_add_co_ci_u32_e32 v53, vcc_lo, s1, v33, vcc_lo
	v_mul_f64 v[24:25], v[65:66], s[2:3]
	v_mul_f64 v[26:27], v[67:68], s[2:3]
	v_fma_f64 v[99:100], v[101:102], v[28:29], v[44:45]
	v_fma_f64 v[101:102], v[101:102], v[30:31], -v[46:47]
	s_waitcnt vmcnt(0)
	v_dual_mov_b32 v98, v21 :: v_dual_mov_b32 v97, v20
	scratch_load_b32 v20, off, off          ; 4-byte Folded Reload
	v_mul_f64 v[38:39], v[22:23], v[2:3]
	v_mul_f64 v[40:41], v[22:23], v[0:1]
	;; [unrolled: 1-line block ×7, first 2 shown]
	v_fma_f64 v[62:63], v[97:98], v[0:1], v[38:39]
	v_mul_f64 v[38:39], v[83:84], s[2:3]
	s_waitcnt vmcnt(0)
	v_mad_u64_u32 v[42:43], null, s4, v20, 0
	s_delay_alu instid0(VALU_DEP_1) | instskip(NEXT) | instid1(VALU_DEP_1)
	v_mov_b32_e32 v18, v43
	v_mad_u64_u32 v[34:35], null, s5, v20, v[18:19]
	ds_load_b128 v[16:19], v64 offset:2320
	v_fma_f64 v[64:65], v[97:98], v[2:3], -v[40:41]
	scratch_load_b128 v[0:3], off, off offset:24 ; 16-byte Folded Reload
	v_mul_f64 v[20:21], v[60:61], s[2:3]
	v_add_co_u32 v60, vcc_lo, v52, s0
	v_mov_b32_e32 v43, v34
	scratch_load_b128 v[32:35], off, off offset:40 ; 16-byte Folded Reload
	v_add_co_ci_u32_e32 v61, vcc_lo, s7, v53, vcc_lo
	v_mul_f64 v[40:41], v[85:86], s[2:3]
	v_lshlrev_b64 v[58:59], 4, v[42:43]
	v_mul_f64 v[42:43], v[87:88], s[2:3]
	s_waitcnt vmcnt(1)
	v_mov_b32_e32 v112, v1
	s_waitcnt lgkmcnt(1)
	v_mul_f64 v[66:67], v[2:3], v[10:11]
	s_waitcnt vmcnt(0)
	v_dual_mov_b32 v111, v0 :: v_dual_mov_b32 v110, v33
	v_mov_b32_e32 v109, v32
	v_mul_f64 v[32:33], v[69:70], s[2:3]
	v_mul_f64 v[68:69], v[2:3], v[8:9]
	scratch_load_b128 v[0:3], off, off offset:56 ; 16-byte Folded Reload
	v_mul_f64 v[54:55], v[34:35], v[14:15]
	v_mul_f64 v[56:57], v[34:35], v[12:13]
	;; [unrolled: 1-line block ×3, first 2 shown]
	v_add_co_u32 v72, vcc_lo, v60, s6
	v_fma_f64 v[66:67], v[111:112], v[8:9], v[66:67]
	v_fma_f64 v[68:69], v[111:112], v[10:11], -v[68:69]
	v_mul_f64 v[10:11], v[64:65], s[2:3]
	v_fma_f64 v[54:55], v[109:110], v[12:13], v[54:55]
	v_fma_f64 v[56:57], v[109:110], v[14:15], -v[56:57]
	s_waitcnt vmcnt(0)
	v_mov_b32_e32 v114, v1
	v_mul_f64 v[70:71], v[2:3], v[6:7]
	v_mul_f64 v[97:98], v[2:3], v[4:5]
	v_mov_b32_e32 v113, v0
	scratch_load_b128 v[0:3], off, off offset:104 ; 16-byte Folded Reload
	v_fma_f64 v[70:71], v[113:114], v[4:5], v[70:71]
	v_mov_b32_e32 v5, v197
	s_waitcnt vmcnt(0) lgkmcnt(0)
	v_mul_f64 v[103:104], v[2:3], v[18:19]
	v_mul_f64 v[105:106], v[2:3], v[16:17]
	v_dual_mov_b32 v116, v1 :: v_dual_mov_b32 v115, v0
	v_mul_f64 v[0:1], v[73:74], s[2:3]
	v_mul_f64 v[2:3], v[75:76], s[2:3]
	v_fma_f64 v[76:77], v[113:114], v[6:7], -v[97:98]
	v_add_co_ci_u32_e32 v73, vcc_lo, s1, v61, vcc_lo
	v_add_co_u32 v74, vcc_lo, v72, s6
	v_mul_f64 v[6:7], v[50:51], s[2:3]
	s_delay_alu instid0(VALU_DEP_3) | instskip(NEXT) | instid1(VALU_DEP_3)
	v_add_co_ci_u32_e32 v75, vcc_lo, s1, v73, vcc_lo
	v_add_co_u32 v12, vcc_lo, v74, s6
	s_delay_alu instid0(VALU_DEP_2) | instskip(SKIP_2) | instid1(VALU_DEP_3)
	v_add_co_ci_u32_e32 v13, vcc_lo, s1, v75, vcc_lo
	v_add_co_u32 v14, vcc_lo, v107, v58
	v_add_co_ci_u32_e32 v15, vcc_lo, v108, v59, vcc_lo
	v_mad_u64_u32 v[58:59], null, 0xfffff7e0, s4, v[12:13]
	global_store_b128 v[52:53], v[20:23], off
	global_store_b128 v[14:15], v[24:27], off
	;; [unrolled: 1-line block ×4, first 2 shown]
	v_fma_f64 v[78:79], v[115:116], v[16:17], v[103:104]
	v_fma_f64 v[80:81], v[115:116], v[18:19], -v[105:106]
	v_mad_u64_u32 v[32:33], null, s4, v5, 0
	v_mul_f64 v[0:1], v[93:94], s[2:3]
	v_mul_f64 v[2:3], v[95:96], s[2:3]
	v_add_nc_u32_e32 v59, s8, v59
	v_add_co_u32 v8, vcc_lo, v58, s6
	global_store_b128 v[74:75], v[28:31], off
	global_store_b128 v[12:13], v[36:39], off
	;; [unrolled: 1-line block ×3, first 2 shown]
	v_mov_b32_e32 v4, v33
	v_add_co_ci_u32_e32 v9, vcc_lo, s1, v59, vcc_lo
	v_mul_f64 v[12:13], v[99:100], s[2:3]
	v_mul_f64 v[14:15], v[101:102], s[2:3]
	s_delay_alu instid0(VALU_DEP_4)
	v_mad_u64_u32 v[33:34], null, s5, v5, v[4:5]
	v_mul_f64 v[4:5], v[48:49], s[2:3]
	v_add_co_u32 v34, vcc_lo, v8, s0
	global_store_b128 v[8:9], v[44:47], off
	v_add_co_ci_u32_e32 v35, vcc_lo, s7, v9, vcc_lo
	v_mul_f64 v[8:9], v[62:63], s[2:3]
	v_mul_f64 v[16:17], v[54:55], s[2:3]
	;; [unrolled: 1-line block ×7, first 2 shown]
	v_add_co_u32 v36, vcc_lo, v34, s6
	v_add_co_ci_u32_e32 v37, vcc_lo, s1, v35, vcc_lo
	v_lshlrev_b64 v[32:33], 4, v[32:33]
	s_delay_alu instid0(VALU_DEP_3) | instskip(NEXT) | instid1(VALU_DEP_3)
	v_add_co_u32 v38, vcc_lo, v36, s6
	v_add_co_ci_u32_e32 v39, vcc_lo, s1, v37, vcc_lo
	v_mul_f64 v[28:29], v[78:79], s[2:3]
	v_mul_f64 v[30:31], v[80:81], s[2:3]
	v_add_co_u32 v32, vcc_lo, v107, v32
	v_add_co_ci_u32_e32 v33, vcc_lo, v108, v33, vcc_lo
	v_add_co_u32 v40, vcc_lo, v38, s6
	v_add_co_ci_u32_e32 v41, vcc_lo, s1, v39, vcc_lo
	global_store_b128 v[32:33], v[0:3], off
	v_add_co_u32 v0, vcc_lo, v40, s6
	v_add_co_ci_u32_e32 v1, vcc_lo, s1, v41, vcc_lo
	s_delay_alu instid0(VALU_DEP_2) | instskip(NEXT) | instid1(VALU_DEP_2)
	v_add_co_u32 v2, vcc_lo, v0, s6
	v_add_co_ci_u32_e32 v3, vcc_lo, s1, v1, vcc_lo
	global_store_b128 v[34:35], v[4:7], off
	v_add_co_u32 v4, vcc_lo, v2, s6
	v_add_co_ci_u32_e32 v5, vcc_lo, s1, v3, vcc_lo
	global_store_b128 v[36:37], v[8:11], off
	global_store_b128 v[38:39], v[12:15], off
	global_store_b128 v[40:41], v[16:19], off
	global_store_b128 v[0:1], v[20:23], off
	global_store_b128 v[2:3], v[24:27], off
	global_store_b128 v[4:5], v[28:31], off
.LBB0_2:
	s_nop 0
	s_sendmsg sendmsg(MSG_DEALLOC_VGPRS)
	s_endpgm
	.section	.rodata,"a",@progbits
	.p2align	6, 0x0
	.amdhsa_kernel bluestein_single_fwd_len150_dim1_dp_op_CI_CI
		.amdhsa_group_segment_fixed_size 28800
		.amdhsa_private_segment_fixed_size 696
		.amdhsa_kernarg_size 104
		.amdhsa_user_sgpr_count 15
		.amdhsa_user_sgpr_dispatch_ptr 0
		.amdhsa_user_sgpr_queue_ptr 0
		.amdhsa_user_sgpr_kernarg_segment_ptr 1
		.amdhsa_user_sgpr_dispatch_id 0
		.amdhsa_user_sgpr_private_segment_size 0
		.amdhsa_wavefront_size32 1
		.amdhsa_uses_dynamic_stack 0
		.amdhsa_enable_private_segment 1
		.amdhsa_system_sgpr_workgroup_id_x 1
		.amdhsa_system_sgpr_workgroup_id_y 0
		.amdhsa_system_sgpr_workgroup_id_z 0
		.amdhsa_system_sgpr_workgroup_info 0
		.amdhsa_system_vgpr_workitem_id 0
		.amdhsa_next_free_vgpr 256
		.amdhsa_next_free_sgpr 30
		.amdhsa_reserve_vcc 1
		.amdhsa_float_round_mode_32 0
		.amdhsa_float_round_mode_16_64 0
		.amdhsa_float_denorm_mode_32 3
		.amdhsa_float_denorm_mode_16_64 3
		.amdhsa_dx10_clamp 1
		.amdhsa_ieee_mode 1
		.amdhsa_fp16_overflow 0
		.amdhsa_workgroup_processor_mode 1
		.amdhsa_memory_ordered 1
		.amdhsa_forward_progress 0
		.amdhsa_shared_vgpr_count 0
		.amdhsa_exception_fp_ieee_invalid_op 0
		.amdhsa_exception_fp_denorm_src 0
		.amdhsa_exception_fp_ieee_div_zero 0
		.amdhsa_exception_fp_ieee_overflow 0
		.amdhsa_exception_fp_ieee_underflow 0
		.amdhsa_exception_fp_ieee_inexact 0
		.amdhsa_exception_int_div_zero 0
	.end_amdhsa_kernel
	.text
.Lfunc_end0:
	.size	bluestein_single_fwd_len150_dim1_dp_op_CI_CI, .Lfunc_end0-bluestein_single_fwd_len150_dim1_dp_op_CI_CI
                                        ; -- End function
	.section	.AMDGPU.csdata,"",@progbits
; Kernel info:
; codeLenInByte = 31876
; NumSgprs: 32
; NumVgprs: 256
; ScratchSize: 696
; MemoryBound: 0
; FloatMode: 240
; IeeeMode: 1
; LDSByteSize: 28800 bytes/workgroup (compile time only)
; SGPRBlocks: 3
; VGPRBlocks: 31
; NumSGPRsForWavesPerEU: 32
; NumVGPRsForWavesPerEU: 256
; Occupancy: 2
; WaveLimiterHint : 1
; COMPUTE_PGM_RSRC2:SCRATCH_EN: 1
; COMPUTE_PGM_RSRC2:USER_SGPR: 15
; COMPUTE_PGM_RSRC2:TRAP_HANDLER: 0
; COMPUTE_PGM_RSRC2:TGID_X_EN: 1
; COMPUTE_PGM_RSRC2:TGID_Y_EN: 0
; COMPUTE_PGM_RSRC2:TGID_Z_EN: 0
; COMPUTE_PGM_RSRC2:TIDIG_COMP_CNT: 0
	.text
	.p2alignl 7, 3214868480
	.fill 96, 4, 3214868480
	.type	__hip_cuid_404a077fa2c6b828,@object ; @__hip_cuid_404a077fa2c6b828
	.section	.bss,"aw",@nobits
	.globl	__hip_cuid_404a077fa2c6b828
__hip_cuid_404a077fa2c6b828:
	.byte	0                               ; 0x0
	.size	__hip_cuid_404a077fa2c6b828, 1

	.ident	"AMD clang version 19.0.0git (https://github.com/RadeonOpenCompute/llvm-project roc-6.4.0 25133 c7fe45cf4b819c5991fe208aaa96edf142730f1d)"
	.section	".note.GNU-stack","",@progbits
	.addrsig
	.addrsig_sym __hip_cuid_404a077fa2c6b828
	.amdgpu_metadata
---
amdhsa.kernels:
  - .args:
      - .actual_access:  read_only
        .address_space:  global
        .offset:         0
        .size:           8
        .value_kind:     global_buffer
      - .actual_access:  read_only
        .address_space:  global
        .offset:         8
        .size:           8
        .value_kind:     global_buffer
      - .actual_access:  read_only
        .address_space:  global
        .offset:         16
        .size:           8
        .value_kind:     global_buffer
      - .actual_access:  read_only
        .address_space:  global
        .offset:         24
        .size:           8
        .value_kind:     global_buffer
      - .actual_access:  read_only
        .address_space:  global
        .offset:         32
        .size:           8
        .value_kind:     global_buffer
      - .offset:         40
        .size:           8
        .value_kind:     by_value
      - .address_space:  global
        .offset:         48
        .size:           8
        .value_kind:     global_buffer
      - .address_space:  global
        .offset:         56
        .size:           8
        .value_kind:     global_buffer
      - .address_space:  global
        .offset:         64
        .size:           8
        .value_kind:     global_buffer
      - .address_space:  global
        .offset:         72
        .size:           8
        .value_kind:     global_buffer
      - .offset:         80
        .size:           4
        .value_kind:     by_value
      - .address_space:  global
        .offset:         88
        .size:           8
        .value_kind:     global_buffer
      - .address_space:  global
        .offset:         96
        .size:           8
        .value_kind:     global_buffer
    .group_segment_fixed_size: 28800
    .kernarg_segment_align: 8
    .kernarg_segment_size: 104
    .language:       OpenCL C
    .language_version:
      - 2
      - 0
    .max_flat_workgroup_size: 60
    .name:           bluestein_single_fwd_len150_dim1_dp_op_CI_CI
    .private_segment_fixed_size: 696
    .sgpr_count:     32
    .sgpr_spill_count: 0
    .symbol:         bluestein_single_fwd_len150_dim1_dp_op_CI_CI.kd
    .uniform_work_group_size: 1
    .uses_dynamic_stack: false
    .vgpr_count:     256
    .vgpr_spill_count: 188
    .wavefront_size: 32
    .workgroup_processor_mode: 1
amdhsa.target:   amdgcn-amd-amdhsa--gfx1100
amdhsa.version:
  - 1
  - 2
...

	.end_amdgpu_metadata
